;; amdgpu-corpus repo=ROCm/rocFFT kind=compiled arch=gfx1201 opt=O3
	.text
	.amdgcn_target "amdgcn-amd-amdhsa--gfx1201"
	.amdhsa_code_object_version 6
	.protected	bluestein_single_fwd_len510_dim1_half_op_CI_CI ; -- Begin function bluestein_single_fwd_len510_dim1_half_op_CI_CI
	.globl	bluestein_single_fwd_len510_dim1_half_op_CI_CI
	.p2align	8
	.type	bluestein_single_fwd_len510_dim1_half_op_CI_CI,@function
bluestein_single_fwd_len510_dim1_half_op_CI_CI: ; @bluestein_single_fwd_len510_dim1_half_op_CI_CI
; %bb.0:
	s_load_b128 s[4:7], s[0:1], 0x28
	v_mul_u32_u24_e32 v1, 0x788, v0
	s_mov_b32 s2, exec_lo
	s_delay_alu instid0(VALU_DEP_1) | instskip(NEXT) | instid1(VALU_DEP_1)
	v_lshrrev_b32_e32 v1, 16, v1
	v_mad_co_u64_u32 v[12:13], null, ttmp9, 7, v[1:2]
	v_mov_b32_e32 v13, 0
                                        ; kill: def $vgpr2 killed $sgpr0 killed $exec
	s_wait_kmcnt 0x0
	s_delay_alu instid0(VALU_DEP_1)
	v_cmpx_gt_u64_e64 s[4:5], v[12:13]
	s_cbranch_execz .LBB0_23
; %bb.1:
	v_mul_hi_u32 v2, 0x24924925, v12
	v_mul_lo_u16 v1, v1, 34
	s_clause 0x1
	s_load_b64 s[12:13], s[0:1], 0x0
	s_load_b64 s[14:15], s[0:1], 0x38
	s_delay_alu instid0(VALU_DEP_1) | instskip(NEXT) | instid1(VALU_DEP_3)
	v_sub_nc_u16 v0, v0, v1
	v_sub_nc_u32_e32 v3, v12, v2
	s_delay_alu instid0(VALU_DEP_2) | instskip(SKIP_1) | instid1(VALU_DEP_3)
	v_and_b32_e32 v41, 0xffff, v0
	v_cmp_gt_u16_e32 vcc_lo, 30, v0
	v_lshrrev_b32_e32 v3, 1, v3
	s_delay_alu instid0(VALU_DEP_3) | instskip(SKIP_1) | instid1(VALU_DEP_3)
	v_lshlrev_b32_e32 v40, 2, v41
	v_or_b32_e32 v39, 0x1e0, v41
	v_add_nc_u32_e32 v2, v3, v2
	s_delay_alu instid0(VALU_DEP_1) | instskip(NEXT) | instid1(VALU_DEP_1)
	v_lshrrev_b32_e32 v2, 2, v2
	v_mul_lo_u32 v2, v2, 7
	s_delay_alu instid0(VALU_DEP_1) | instskip(NEXT) | instid1(VALU_DEP_1)
	v_sub_nc_u32_e32 v1, v12, v2
	v_mul_u32_u24_e32 v23, 0x1fe, v1
	s_delay_alu instid0(VALU_DEP_1)
	v_lshlrev_b32_e32 v42, 2, v23
	s_and_saveexec_b32 s3, vcc_lo
	s_cbranch_execz .LBB0_3
; %bb.2:
	s_load_b64 s[4:5], s[0:1], 0x18
	s_wait_kmcnt 0x0
	s_load_b128 s[8:11], s[4:5], 0x0
	s_clause 0x7
	global_load_b32 v10, v40, s[12:13]
	global_load_b32 v11, v40, s[12:13] offset:120
	global_load_b32 v13, v40, s[12:13] offset:240
	;; [unrolled: 1-line block ×7, first 2 shown]
	s_wait_kmcnt 0x0
	v_mad_co_u64_u32 v[0:1], null, s10, v12, 0
	v_mad_co_u64_u32 v[2:3], null, s8, v41, 0
	;; [unrolled: 1-line block ×3, first 2 shown]
	s_mul_u64 s[4:5], s[8:9], 0x78
	s_delay_alu instid0(VALU_DEP_2) | instskip(NEXT) | instid1(VALU_DEP_2)
	v_mad_co_u64_u32 v[6:7], null, s11, v12, v[1:2]
	v_mad_co_u64_u32 v[7:8], null, s9, v41, v[3:4]
	s_delay_alu instid0(VALU_DEP_2) | instskip(SKIP_1) | instid1(VALU_DEP_3)
	v_mad_co_u64_u32 v[8:9], null, s9, v39, v[5:6]
	v_mov_b32_e32 v1, v6
	v_mov_b32_e32 v3, v7
	s_clause 0x8
	global_load_b32 v6, v40, s[12:13] offset:960
	global_load_b32 v9, v40, s[12:13] offset:1080
	;; [unrolled: 1-line block ×9, first 2 shown]
	v_lshlrev_b64_e32 v[0:1], 2, v[0:1]
	v_mov_b32_e32 v5, v8
	v_lshlrev_b64_e32 v[2:3], 2, v[2:3]
	s_delay_alu instid0(VALU_DEP_3) | instskip(NEXT) | instid1(VALU_DEP_1)
	v_add_co_u32 v8, s2, s6, v0
	v_add_co_ci_u32_e64 v26, s2, s7, v1, s2
	s_delay_alu instid0(VALU_DEP_4) | instskip(NEXT) | instid1(VALU_DEP_3)
	v_lshlrev_b64_e32 v[0:1], 2, v[4:5]
	v_add_co_u32 v2, s2, v8, v2
	s_wait_alu 0xf1ff
	s_delay_alu instid0(VALU_DEP_3) | instskip(NEXT) | instid1(VALU_DEP_3)
	v_add_co_ci_u32_e64 v3, s2, v26, v3, s2
	v_add_co_u32 v0, s2, v8, v0
	s_wait_alu 0xf1ff
	v_add_co_ci_u32_e64 v1, s2, v26, v1, s2
	s_clause 0x1
	global_load_b32 v4, v[2:3], off
	global_load_b32 v5, v[0:1], off
	s_wait_alu 0xfffe
	v_add_co_u32 v2, s2, v2, s4
	s_wait_alu 0xf1ff
	v_add_co_ci_u32_e64 v3, s2, s5, v3, s2
	s_delay_alu instid0(VALU_DEP_2) | instskip(SKIP_1) | instid1(VALU_DEP_2)
	v_add_co_u32 v0, s2, v2, s4
	s_wait_alu 0xf1ff
	v_add_co_ci_u32_e64 v1, s2, s5, v3, s2
	s_clause 0x1
	global_load_b32 v8, v[2:3], off
	global_load_b32 v26, v[0:1], off
	v_add_co_u32 v0, s2, v0, s4
	s_wait_alu 0xf1ff
	v_add_co_ci_u32_e64 v1, s2, s5, v1, s2
	s_delay_alu instid0(VALU_DEP_2) | instskip(SKIP_1) | instid1(VALU_DEP_2)
	v_add_co_u32 v2, s2, v0, s4
	s_wait_alu 0xf1ff
	v_add_co_ci_u32_e64 v3, s2, s5, v1, s2
	s_clause 0x1
	global_load_b32 v27, v[0:1], off
	global_load_b32 v28, v[2:3], off
	v_add_co_u32 v0, s2, v2, s4
	s_wait_alu 0xf1ff
	v_add_co_ci_u32_e64 v1, s2, s5, v3, s2
	s_delay_alu instid0(VALU_DEP_2) | instskip(SKIP_1) | instid1(VALU_DEP_2)
	v_add_co_u32 v2, s2, v0, s4
	s_wait_alu 0xf1ff
	v_add_co_ci_u32_e64 v3, s2, s5, v1, s2
	global_load_b32 v29, v[0:1], off
	v_add_co_u32 v0, s2, v2, s4
	s_wait_alu 0xf1ff
	v_add_co_ci_u32_e64 v1, s2, s5, v3, s2
	global_load_b32 v30, v[2:3], off
	global_load_b32 v31, v[0:1], off
	v_add_co_u32 v0, s2, v0, s4
	s_wait_alu 0xf1ff
	v_add_co_ci_u32_e64 v1, s2, s5, v1, s2
	s_delay_alu instid0(VALU_DEP_2) | instskip(SKIP_1) | instid1(VALU_DEP_2)
	v_add_co_u32 v2, s2, v0, s4
	s_wait_alu 0xf1ff
	v_add_co_ci_u32_e64 v3, s2, s5, v1, s2
	global_load_b32 v32, v[0:1], off
	v_add_co_u32 v0, s2, v2, s4
	s_wait_alu 0xf1ff
	v_add_co_ci_u32_e64 v1, s2, s5, v3, s2
	;; [unrolled: 13-line block ×3, first 2 shown]
	global_load_b32 v36, v[2:3], off
	v_add_co_u32 v2, s2, v0, s4
	s_wait_alu 0xf1ff
	v_add_co_ci_u32_e64 v3, s2, s5, v1, s2
	global_load_b32 v37, v[0:1], off
	v_add_co_u32 v0, s2, v2, s4
	s_wait_alu 0xf1ff
	v_add_co_ci_u32_e64 v1, s2, s5, v3, s2
	global_load_b32 v2, v[2:3], off
	global_load_b32 v0, v[0:1], off
	v_lshl_add_u32 v3, v41, 2, v42
	v_add_nc_u32_e32 v1, v42, v40
	s_delay_alu instid0(VALU_DEP_1)
	v_add_nc_u32_e32 v38, 0x400, v1
	s_wait_loadcnt 0x21
	v_lshrrev_b32_e32 v43, 16, v10
	s_wait_loadcnt 0x20
	v_lshrrev_b32_e32 v44, 16, v11
	;; [unrolled: 2-line block ×18, first 2 shown]
	v_mul_f16_e32 v60, v43, v4
	s_wait_loadcnt 0xf
	v_lshrrev_b32_e32 v62, 16, v5
	v_mul_f16_e32 v63, v58, v5
	v_mul_f16_e32 v43, v43, v59
	v_fma_f16 v59, v10, v59, -v60
	s_delay_alu instid0(VALU_DEP_4) | instskip(NEXT) | instid1(VALU_DEP_4)
	v_mul_f16_e32 v58, v58, v62
	v_fma_f16 v62, v7, v62, -v63
	s_delay_alu instid0(VALU_DEP_4) | instskip(NEXT) | instid1(VALU_DEP_3)
	v_fmac_f16_e32 v43, v10, v4
	v_fmac_f16_e32 v58, v7, v5
	s_wait_loadcnt 0xe
	v_lshrrev_b32_e32 v60, 16, v8
	v_mul_f16_e32 v64, v44, v8
	v_pack_b32_f16 v5, v43, v59
	s_delay_alu instid0(VALU_DEP_3)
	v_mul_f16_e32 v4, v44, v60
	s_wait_loadcnt 0xd
	v_lshrrev_b32_e32 v44, 16, v26
	v_fma_f16 v10, v11, v60, -v64
	v_mul_f16_e32 v60, v45, v26
	ds_store_b32 v3, v5
	v_fmac_f16_e32 v4, v11, v8
	v_mul_f16_e32 v7, v45, v44
	s_wait_loadcnt 0xc
	v_lshrrev_b32_e32 v11, 16, v27
	v_fma_f16 v8, v13, v44, -v60
	v_mul_f16_e32 v43, v46, v27
	v_pack_b32_f16 v3, v4, v10
	v_fmac_f16_e32 v7, v13, v26
	v_mul_f16_e32 v4, v46, v11
	s_wait_loadcnt 0xb
	v_lshrrev_b32_e32 v5, 16, v28
	v_mul_f16_e32 v10, v47, v28
	v_fma_f16 v11, v14, v11, -v43
	v_pack_b32_f16 v7, v7, v8
	v_fmac_f16_e32 v4, v14, v27
	v_mul_f16_e32 v8, v47, v5
	v_fma_f16 v5, v15, v5, -v10
	s_wait_loadcnt 0xa
	v_lshrrev_b32_e32 v10, 16, v29
	v_mul_f16_e32 v13, v48, v29
	ds_store_2addr_b32 v1, v3, v7 offset0:30 offset1:60
	v_pack_b32_f16 v3, v4, v11
	v_fmac_f16_e32 v8, v15, v28
	v_mul_f16_e32 v4, v48, v10
	s_wait_loadcnt 0x9
	v_lshrrev_b32_e32 v7, 16, v30
	v_mul_f16_e32 v11, v49, v30
	v_fma_f16 v10, v16, v10, -v13
	v_pack_b32_f16 v5, v8, v5
	v_fmac_f16_e32 v4, v16, v29
	v_mul_f16_e32 v8, v49, v7
	v_fma_f16 v7, v17, v7, -v11
	s_wait_loadcnt 0x8
	v_lshrrev_b32_e32 v11, 16, v31
	v_mul_f16_e32 v13, v50, v31
	ds_store_2addr_b32 v1, v3, v5 offset0:90 offset1:120
	;; [unrolled: 15-line block ×4, first 2 shown]
	v_pack_b32_f16 v1, v4, v10
	v_fmac_f16_e32 v8, v19, v34
	s_wait_loadcnt 0x3
	v_lshrrev_b32_e32 v3, 16, v36
	v_mul_f16_e32 v4, v54, v7
	v_fma_f16 v5, v20, v7, -v9
	v_mul_f16_e32 v7, v55, v36
	v_pack_b32_f16 v6, v8, v6
	v_mul_f16_e32 v8, v55, v3
	s_wait_loadcnt 0x2
	v_lshrrev_b32_e32 v9, 16, v37
	s_wait_loadcnt 0x1
	v_lshrrev_b32_e32 v10, 16, v2
	v_fma_f16 v3, v21, v3, -v7
	v_mul_f16_e32 v7, v56, v37
	s_wait_loadcnt 0x0
	v_lshrrev_b32_e32 v13, 16, v0
	v_mul_f16_e32 v11, v56, v9
	v_mul_f16_e32 v14, v57, v10
	;; [unrolled: 1-line block ×3, first 2 shown]
	v_fma_f16 v7, v22, v9, -v7
	v_mul_f16_e32 v9, v57, v2
	v_mul_f16_e32 v16, v61, v13
	v_fmac_f16_e32 v4, v20, v35
	v_fmac_f16_e32 v8, v21, v36
	;; [unrolled: 1-line block ×3, first 2 shown]
	v_fma_f16 v9, v24, v10, -v9
	v_fmac_f16_e32 v14, v24, v2
	v_fma_f16 v2, v25, v13, -v15
	v_fmac_f16_e32 v16, v25, v0
	v_pack_b32_f16 v0, v4, v5
	v_pack_b32_f16 v3, v8, v3
	;; [unrolled: 1-line block ×6, first 2 shown]
	ds_store_2addr_b32 v38, v1, v6 offset0:14 offset1:44
	ds_store_2addr_b32 v38, v0, v3 offset0:74 offset1:104
	;; [unrolled: 1-line block ×4, first 2 shown]
.LBB0_3:
	s_or_b32 exec_lo, exec_lo, s3
	v_mov_b32_e32 v6, 0
	global_wb scope:SCOPE_SE
	s_wait_dscnt 0x0
	s_wait_kmcnt 0x0
	s_barrier_signal -1
	s_barrier_wait -1
	global_inv scope:SCOPE_SE
                                        ; implicit-def: $vgpr21
                                        ; implicit-def: $vgpr3
                                        ; implicit-def: $vgpr5
                                        ; implicit-def: $vgpr9
                                        ; implicit-def: $vgpr11
                                        ; implicit-def: $vgpr16
                                        ; implicit-def: $vgpr18
                                        ; implicit-def: $vgpr20
                                        ; implicit-def: $vgpr43
	s_and_saveexec_b32 s2, vcc_lo
	s_cbranch_execz .LBB0_5
; %bb.4:
	v_lshl_add_u32 v0, v23, 2, v40
	ds_load_2addr_b32 v[6:7], v0 offset1:30
	v_add_nc_u32_e32 v1, 0x200, v0
	v_add_nc_u32_e32 v2, 0x400, v0
	ds_load_2addr_b32 v[19:20], v0 offset0:60 offset1:90
	ds_load_2addr_b32 v[17:18], v0 offset0:120 offset1:150
	;; [unrolled: 1-line block ×7, first 2 shown]
	ds_load_b32 v21, v0 offset:1920
	s_wait_dscnt 0x7
	v_alignbit_b32 v43, v19, v19, 16
.LBB0_5:
	s_wait_alu 0xfffe
	s_or_b32 exec_lo, exec_lo, s2
	s_wait_dscnt 0x0
	v_pk_add_f16 v19, v7, v21 neg_lo:[0,1] neg_hi:[0,1]
	v_pk_add_f16 v26, v43, v3 op_sel:[1,0] op_sel_hi:[0,1] neg_lo:[0,1] neg_hi:[0,1]
	v_pk_add_f16 v25, v21, v7
	v_pk_add_f16 v22, v3, v43 op_sel:[1,0] op_sel_hi:[0,1]
	v_lshrrev_b32_e32 v44, 16, v6
	v_lshrrev_b32_e32 v107, 16, v19
	v_lshrrev_b32_e32 v106, 16, v26
	v_lshrrev_b32_e32 v62, 16, v25
	v_mul_f16_e32 v49, 0xb964, v19
	v_lshrrev_b32_e32 v59, 16, v22
	v_mul_f16_e32 v35, 0xb5c8, v107
	v_mul_f16_e32 v36, 0xb964, v106
	;; [unrolled: 1-line block ×3, first 2 shown]
	v_fma_f16 v13, v62, 0x39e9, -v49
	v_mul_f16_e32 v58, 0xbbf7, v26
	v_fmamk_f16 v1, v25, 0x3b76, v35
	v_fmamk_f16 v28, v59, 0x39e9, v36
	v_mul_f16_e32 v61, 0xbb29, v107
	v_fma_f16 v14, v62, 0x3722, -v64
	v_add_f16_e32 v13, v13, v44
	v_add_f16_e32 v1, v1, v6
	v_pk_add_f16 v27, v20, v2 neg_lo:[0,1] neg_hi:[0,1]
	v_mul_f16_e32 v72, 0xba62, v26
	v_fma_f16 v29, v22, 0x2de8, -v58
	v_fmamk_f16 v24, v25, 0x3722, v61
	v_add_f16_e32 v1, v28, v1
	v_pk_add_f16 v28, v2, v20
	v_add_f16_e32 v14, v14, v44
	v_lshrrev_b32_e32 v109, 16, v27
	v_mul_f16_e32 v63, 0xba62, v106
	v_fma_f16 v31, v22, 0xb8d2, -v72
	v_add_f16_e32 v13, v29, v13
	v_pk_add_f16 v29, v17, v5 neg_lo:[0,1] neg_hi:[0,1]
	v_lshrrev_b32_e32 v66, 16, v28
	v_mul_f16_e32 v54, 0xba62, v27
	v_add_f16_e32 v24, v24, v6
	v_mul_f16_e32 v38, 0xbb29, v109
	v_fmamk_f16 v30, v59, 0xb8d2, v63
	v_add_f16_e32 v14, v31, v14
	v_lshrrev_b32_e32 v110, 16, v29
	v_fma_f16 v31, v66, 0xb8d2, -v54
	v_fmamk_f16 v33, v28, 0x3722, v38
	v_add_f16_e32 v24, v30, v24
	v_mul_f16_e32 v65, 0x31e1, v109
	v_pk_add_f16 v30, v5, v17
	v_mul_f16_e32 v48, 0xbbf7, v110
	v_add_f16_e32 v13, v31, v13
	v_pk_add_f16 v31, v18, v4 neg_lo:[0,1] neg_hi:[0,1]
	v_pk_mul_f16 v0, 0x3b7639e9, v25
	v_add_f16_e32 v1, v33, v1
	v_mul_f16_e32 v75, 0x31e1, v27
	v_fmamk_f16 v33, v28, 0xbbdd, v65
	v_fmamk_f16 v50, v30, 0x2de8, v48
	v_lshrrev_b32_e32 v111, 16, v31
	v_mul_f16_e32 v69, 0x3bb2, v110
	v_pk_fma_f16 v32, 0xb964b5c8, v19, v0 op_sel:[0,0,1] op_sel_hi:[1,1,0]
	v_pk_mul_f16 v45, 0xbbf7b964, v26
	v_fma_f16 v34, v66, 0xbbdd, -v75
	v_add_f16_e32 v24, v33, v24
	v_add_f16_e32 v1, v50, v1
	v_lshrrev_b32_e32 v73, 16, v30
	v_mul_f16_e32 v60, 0xb1e1, v29
	v_pk_add_f16 v33, v4, v18
	v_mul_f16_e32 v56, 0xbbb2, v111
	v_fmamk_f16 v50, v30, 0xb461, v69
	v_pk_fma_f16 v37, 0x2de839e9, v22, v45
	v_pk_mul_f16 v46, 0x3722b8d2, v28
	v_add_f16_e32 v14, v34, v14
	v_fma_f16 v34, v73, 0xbbdd, -v60
	v_fmamk_f16 v52, v33, 0xb461, v56
	v_add_f16_e32 v24, v50, v24
	v_lshrrev_b32_e32 v50, 16, v32
	v_pk_fma_f16 v47, 0xba62bb29, v27, v46 op_sel:[0,0,1] op_sel_hi:[1,1,0]
	v_pk_mul_f16 v87, 0x2de8bbdd, v30
	v_mul_f16_e32 v79, 0x3bb2, v29
	v_add_f16_e32 v13, v34, v13
	v_pk_add_f16 v34, v15, v9 neg_lo:[0,1] neg_hi:[0,1]
	v_add_f16_e32 v83, v52, v1
	v_add_f16_e32 v1, v50, v6
	v_lshrrev_b32_e32 v50, 16, v37
	v_fma_f16 v51, v73, 0xb461, -v79
	v_pk_fma_f16 v53, 0xb1e1bbf7, v29, v87 op_sel:[0,0,1] op_sel_hi:[1,1,0]
	v_pk_mul_f16 v88, 0xb461bacd, v33
	v_mul_f16_e32 v81, 0x3964, v111
	v_lshrrev_b32_e32 v119, 16, v34
	v_pk_add_f16 v52, v9, v15
	v_add_f16_e32 v1, v50, v1
	v_lshrrev_b32_e32 v55, 16, v47
	v_add_f16_e32 v14, v51, v14
	v_pk_fma_f16 v67, 0x3836bbb2, v31, v88 op_sel:[0,0,1] op_sel_hi:[1,1,0]
	v_fmamk_f16 v51, v33, 0x39e9, v81
	v_mul_f16_e32 v74, 0xb5c8, v119
	v_pk_mul_f16 v89, 0xb8d2b461, v52
	v_pk_add_f16 v50, v16, v8 neg_lo:[0,1] neg_hi:[0,1]
	v_add_f16_e32 v1, v55, v1
	v_lshrrev_b32_e32 v57, 16, v53
	v_pk_add_f16 v55, v8, v16
	v_add_f16_e32 v24, v51, v24
	v_fmamk_f16 v51, v52, 0x3b76, v74
	v_pk_fma_f16 v68, 0x3bb2ba62, v34, v89 op_sel:[0,0,1] op_sel_hi:[1,1,0]
	v_lshrrev_b32_e32 v122, 16, v50
	v_add_f16_e32 v1, v57, v1
	v_lshrrev_b32_e32 v70, 16, v67
	v_pk_mul_f16 v90, 0xbacd3722, v55
	v_pk_add_f16 v57, v11, v10
	v_add_f16_e32 v24, v51, v24
	v_mul_f16_e32 v76, 0xbbf7, v122
	v_pk_add_f16 v51, v10, v11 neg_lo:[0,1] neg_hi:[0,1]
	v_add_f16_e32 v1, v70, v1
	v_lshrrev_b32_e32 v71, 16, v68
	v_pk_fma_f16 v70, 0x3b29b836, v50, v90 op_sel:[0,0,1] op_sel_hi:[1,1,0]
	v_pk_mul_f16 v93, 0xbbdd3b76, v57
	v_fmamk_f16 v78, v55, 0x2de8, v76
	v_lshrrev_b32_e32 v96, 16, v33
	v_add_f16_e32 v1, v71, v1
	v_lshrrev_b32_e32 v82, 16, v70
	v_pk_fma_f16 v71, 0x35c8b1e1, v51, v93 op_sel:[0,0,1] op_sel_hi:[1,1,0]
	v_mul_f16_e32 v80, 0x3836, v31
	v_add_f16_e32 v24, v78, v24
	v_mul_f16_e32 v101, 0x3964, v31
	v_add_f16_e32 v1, v82, v1
	v_lshrrev_b32_e32 v84, 16, v71
	v_fma_f16 v85, v96, 0xbacd, -v80
	v_mul_f16_e32 v78, 0xba62, v119
	v_fma_f16 v86, v96, 0x39e9, -v101
	v_lshrrev_b32_e32 v95, 16, v52
	v_mul_f16_e32 v82, 0x3bb2, v34
	v_add_f16_e32 v13, v85, v13
	v_fmamk_f16 v85, v52, 0xb8d2, v78
	v_add_f16_e32 v1, v84, v1
	v_pk_fma_f16 v84, 0xb964b5c8, v19, v0 op_sel:[0,0,1] op_sel_hi:[1,1,0] neg_lo:[0,1,0] neg_hi:[0,1,0]
	v_add_f16_e32 v14, v86, v14
	v_fma_f16 v86, v95, 0xb461, -v82
	v_add_f16_e32 v0, v85, v83
	v_pk_fma_f16 v85, 0x2de839e9, v22, v45 neg_lo:[0,0,1] neg_hi:[0,0,1]
	v_add_f16_e32 v45, v84, v44
	v_mul_f16_e32 v83, 0xb836, v122
	v_add_f16_e32 v13, v86, v13
	v_pk_fma_f16 v86, 0xba62bb29, v27, v46 op_sel:[0,0,1] op_sel_hi:[1,1,0] neg_lo:[0,1,0] neg_hi:[0,1,0]
	v_mul_f16_e32 v102, 0xb5c8, v34
	v_add_f16_e32 v45, v85, v45
	v_fmamk_f16 v46, v55, 0xbacd, v83
	v_pk_fma_f16 v87, 0xb1e1bbf7, v29, v87 op_sel:[0,0,1] op_sel_hi:[1,1,0] neg_lo:[0,1,0] neg_hi:[0,1,0]
	v_lshrrev_b32_e32 v100, 16, v55
	v_fma_f16 v91, v95, 0x3b76, -v102
	v_add_f16_e32 v45, v86, v45
	v_mul_f16_e32 v92, 0x3b29, v50
	v_mul_f16_e32 v104, 0xbbf7, v50
	v_add_f16_e32 v46, v46, v0
	v_pk_fma_f16 v88, 0x3836bbb2, v31, v88 op_sel:[0,0,1] op_sel_hi:[1,1,0] neg_lo:[0,1,0] neg_hi:[0,1,0]
	v_add_f16_e32 v0, v87, v45
	v_lshrrev_b32_e32 v124, 16, v51
	v_add_f16_e32 v14, v91, v14
	v_fma_f16 v91, v100, 0x3722, -v92
	v_fma_f16 v94, v100, 0x2de8, -v104
	v_pk_fma_f16 v89, 0x3bb2ba62, v34, v89 op_sel:[0,0,1] op_sel_hi:[1,1,0] neg_lo:[0,1,0] neg_hi:[0,1,0]
	v_add_f16_e32 v0, v88, v0
	s_clause 0x1
	s_load_b64 s[4:5], s[0:1], 0x20
	s_load_b64 s[2:3], s[0:1], 0x8
	v_mul_f16_e32 v77, 0xb836, v124
	v_add_f16_e32 v13, v91, v13
	v_add_f16_e32 v14, v94, v14
	v_lshrrev_b32_e32 v97, 16, v57
	v_mul_f16_e32 v94, 0x35c8, v51
	v_mul_f16_e32 v98, 0xb836, v51
	v_pk_fma_f16 v90, 0x3b29b836, v50, v90 op_sel:[0,0,1] op_sel_hi:[1,1,0] neg_lo:[0,1,0] neg_hi:[0,1,0]
	v_mul_f16_e32 v91, 0xb1e1, v124
	v_add_f16_e32 v0, v89, v0
	v_fmamk_f16 v99, v57, 0xbacd, v77
	v_fma_f16 v45, v97, 0x3b76, -v94
	v_fma_f16 v103, v97, 0xbacd, -v98
	v_pk_fma_f16 v93, 0x35c8b1e1, v51, v93 op_sel:[0,0,1] op_sel_hi:[1,1,0] neg_lo:[0,1,0] neg_hi:[0,1,0]
	v_fmamk_f16 v105, v57, 0xbbdd, v91
	v_add_f16_e32 v108, v90, v0
	v_add_f16_e32 v0, v99, v24
	;; [unrolled: 1-line block ×6, first 2 shown]
	v_mul_lo_u16 v45, v41, 17
	global_wb scope:SCOPE_SE
	s_wait_kmcnt 0x0
	s_barrier_signal -1
	s_barrier_wait -1
	global_inv scope:SCOPE_SE
	s_and_saveexec_b32 s0, vcc_lo
	s_cbranch_execz .LBB0_7
; %bb.6:
	v_mul_f16_e32 v121, 0x2de8, v62
	v_mul_f16_e32 v117, 0xbbf7, v107
	;; [unrolled: 1-line block ×5, first 2 shown]
	v_fmamk_f16 v99, v19, 0x3bf7, v121
	v_fmamk_f16 v103, v25, 0x2de8, v117
	v_mul_f16_e32 v115, 0x3bb2, v109
	v_fmamk_f16 v105, v26, 0x31e1, v120
	v_fmamk_f16 v108, v59, 0xbbdd, v114
	v_add_f16_e32 v99, v99, v44
	v_add_f16_e32 v103, v103, v6
	v_mul_f16_e32 v125, 0x3b76, v73
	v_mul_f16_e32 v113, 0x35c8, v110
	v_fmamk_f16 v112, v27, 0xbbb2, v126
	v_add_f16_e32 v99, v105, v99
	v_fmamk_f16 v105, v28, 0xb461, v115
	v_add_f16_e32 v103, v108, v103
	v_fmamk_f16 v108, v29, 0xb5c8, v125
	v_fmamk_f16 v118, v30, 0x3b76, v113
	v_add_f16_e32 v99, v112, v99
	v_mul_f16_e32 v127, 0x3722, v96
	v_add_f16_e32 v103, v105, v103
	v_mul_f16_e32 v116, 0xbb29, v111
	v_mul_f16_e32 v123, 0xbacd, v95
	v_add_f16_e32 v99, v108, v99
	v_fmamk_f16 v105, v31, 0x3b29, v127
	v_add_f16_e32 v103, v118, v103
	v_fmamk_f16 v108, v33, 0x3722, v116
	v_mul_f16_e32 v118, 0xb836, v119
	v_mul_f16_e64 v128, 0xb461, v62
	v_add_f16_e32 v99, v105, v99
	v_fmamk_f16 v105, v34, 0x3836, v123
	v_add_f16_e32 v103, v108, v103
	v_fmamk_f16 v108, v52, 0xbacd, v118
	v_fma_f16 v112, 0x3bb2, v19, v128
	v_mul_f16_e64 v129, 0xbacd, v22
	v_mul_f16_e64 v130, 0xb8d2, v100
	v_add_f16_e32 v99, v105, v99
	v_add_f16_e32 v103, v108, v103
	;; [unrolled: 1-line block ×3, first 2 shown]
	v_fma_f16 v108, 0xb836, v26, v129
	v_mul_f16_e64 v131, 0x39e9, v66
	v_fma_f16 v112, 0xba62, v50, v130
	v_mul_f16_e64 v133, 0x39e9, v97
	v_mul_f16_e64 v132, 0x3a62, v122
	v_add_f16_e32 v105, v108, v105
	v_fma_f16 v108, 0xb964, v27, v131
	v_mul_f16_e64 v134, 0x3722, v73
	v_add_f16_e32 v99, v112, v99
	v_fma_f16 v135, 0xb964, v51, v133
	v_fma_f16 v112, 0xb8d2, v55, v132
	v_add_f16_e32 v105, v108, v105
	v_fma_f16 v108, 0x3b29, v29, v134
	v_mul_f16_e64 v136, 0xbbdd, v96
	v_add_f16_e64 v99, v135, v99
	v_mul_f16_e64 v135, 0xbbb2, v107
	v_add_f16_e32 v103, v112, v103
	v_add_f16_e32 v105, v108, v105
	v_fma_f16 v108, 0x31e1, v31, v136
	v_mul_f16_e64 v137, 0x2de8, v95
	v_mul_f16_e64 v138, 0x3964, v124
	v_fma_f16 v112, 0xb461, v25, v135
	v_mul_f16_e64 v139, 0x3836, v106
	v_add_f16_e32 v105, v108, v105
	v_fma_f16 v108, 0xbbf7, v34, v137
	v_mul_f16_e64 v140, 0x3b76, v100
	v_add_f16_e32 v112, v112, v6
	v_fma_f16 v141, 0xbacd, v59, v139
	v_mul_f16_e64 v142, 0x3964, v109
	v_fma_f16 v143, 0x39e9, v57, v138
	v_add_f16_e32 v105, v108, v105
	v_fma_f16 v108, 0x35c8, v50, v140
	v_add_f16_e64 v112, v141, v112
	v_fma_f16 v141, 0x39e9, v28, v142
	v_mul_f16_e64 v144, 0xbb29, v110
	v_add_f16_e64 v103, v143, v103
	v_mul_f16_e64 v143, 0xb8d2, v62
	v_add_f16_e32 v105, v108, v105
	v_add_f16_e64 v108, v141, v112
	v_fma_f16 v112, 0x3722, v30, v144
	v_mul_f16_e64 v141, 0xb1e1, v111
	v_mul_f16_e64 v145, 0xb8d2, v97
	v_fma_f16 v146, 0x3a62, v19, v143
	v_mul_f16_e64 v147, 0xb461, v22
	v_add_f16_e32 v108, v112, v108
	v_fma_f16 v112, 0xbbdd, v33, v141
	v_mul_f16_e64 v148, 0x3bf7, v119
	v_add_f16_e64 v146, v146, v44
	v_fma_f16 v149, 0xbbb2, v26, v147
	v_mul_f16_e64 v150, 0x3b76, v66
	v_fma_f16 v153, 0x3a62, v51, v145
	v_add_f16_e32 v108, v112, v108
	v_fma_f16 v112, 0x2de8, v52, v148
	v_mul_f16_e64 v151, 0xb5c8, v122
	v_add_f16_e64 v146, v149, v146
	v_fma_f16 v149, 0x35c8, v27, v150
	v_mul_f16_e64 v152, 0xbacd, v73
	v_add_f16_e64 v105, v153, v105
	v_mul_f16_e64 v153, 0xba62, v107
	v_add_f16_e32 v108, v112, v108
	v_fma_f16 v112, 0x3b76, v55, v151
	v_add_f16_e64 v146, v149, v146
	v_fma_f16 v149, 0x3836, v29, v152
	v_mul_f16_e64 v154, 0x2de8, v96
	v_fma_f16 v156, 0xb8d2, v25, v153
	v_mul_f16_e64 v157, 0x3bb2, v106
	v_add_f16_e32 v108, v112, v108
	v_add_f16_e64 v112, v149, v146
	v_fma_f16 v146, 0xbbf7, v31, v154
	v_mul_f16_e64 v149, 0x39e9, v95
	v_mul_f16_e64 v155, 0xba62, v124
	v_add_f16_e64 v156, v156, v6
	v_fma_f16 v159, 0xb461, v59, v157
	v_mul_f16_e64 v160, 0xb5c8, v109
	v_add_f16_e64 v112, v146, v112
	v_fma_f16 v146, 0x3964, v34, v149
	v_mul_f16_e64 v158, 0xbbdd, v100
	v_fma_f16 v161, 0xb8d2, v57, v155
	v_add_f16_e64 v156, v159, v156
	v_fma_f16 v159, 0x3b76, v28, v160
	v_mul_f16_e64 v162, 0xb836, v110
	v_add_f16_e64 v112, v146, v112
	v_fma_f16 v146, 0x31e1, v50, v158
	v_add_f16_e64 v108, v161, v108
	v_add_f16_e64 v156, v159, v156
	v_fma_f16 v159, 0xbacd, v30, v162
	v_mul_f16_e64 v161, 0x3bf7, v111
	v_add_f16_e64 v112, v146, v112
	v_mul_f16_e64 v146, 0xbacd, v62
	v_mul_f16_e64 v166, 0xb964, v119
	v_add_f16_e64 v156, v159, v156
	v_fma_f16 v159, 0x2de8, v33, v161
	v_mul_f16_e64 v165, 0x3722, v22
	v_fma_f16 v164, 0x3836, v19, v146
	v_mul_f16_e64 v169, 0xb1e1, v122
	v_fmac_f16_e64 v146, 0xb836, v19
	v_add_f16_e64 v156, v159, v156
	v_fma_f16 v159, 0x39e9, v52, v166
	v_add_f16_e64 v164, v164, v44
	v_fma_f16 v167, 0xbb29, v26, v165
	v_mul_f16_e64 v168, 0x2de8, v66
	v_add_f16_e64 v146, v146, v44
	v_add_f16_e64 v156, v159, v156
	v_fma_f16 v159, 0xbbdd, v55, v169
	v_fmac_f16_e64 v165, 0x3b29, v26
	v_mul_f16_e64 v163, 0x3722, v97
	v_add_f16_e64 v164, v167, v164
	v_fma_f16 v167, 0x3bf7, v27, v168
	v_mul_f16_e64 v170, 0xb8d2, v73
	v_add_f16_e64 v156, v159, v156
	v_mul_f16_e64 v159, 0xb836, v107
	v_add_f16_e64 v146, v165, v146
	v_fmac_f16_e64 v168, 0xbbf7, v27
	v_fma_f16 v171, 0xbb29, v51, v163
	v_add_f16_e64 v164, v167, v164
	v_fma_f16 v167, 0xba62, v29, v170
	v_mul_f16_e64 v172, 0x3b76, v96
	v_fma_f16 v173, 0xbacd, v25, v159
	v_mul_f16_e64 v174, 0x3b29, v106
	v_add_f16_e64 v146, v168, v146
	v_fmac_f16_e64 v170, 0x3a62, v29
	v_add_f16_e64 v112, v171, v112
	v_add_f16_e64 v107, v167, v164
	v_fma_f16 v164, 0x35c8, v31, v172
	v_mul_f16_e64 v167, 0xbbdd, v95
	v_mul_f16_e64 v171, 0x3b29, v124
	v_add_f16_e64 v173, v173, v6
	v_fma_f16 v175, 0x3722, v59, v174
	v_mul_f16_e32 v109, 0xbbf7, v109
	v_fma_f16 v159, v25, 0xbacd, -v159
	v_add_f16_e64 v146, v170, v146
	v_fmac_f16_e64 v172, 0xb5c8, v31
	v_add_f16_e64 v106, v164, v107
	v_fma_f16 v107, 0x31e1, v34, v167
	v_mul_f16_e64 v164, 0x39e9, v100
	v_fma_f16 v176, 0x3722, v57, v171
	v_add_f16_e64 v173, v175, v173
	v_fma_f16 v175, 0x2de8, v28, v109
	v_add_f16_e64 v159, v159, v6
	v_fma_f16 v168, v59, 0x3722, -v174
	v_add_f16_e64 v146, v172, v146
	v_fmac_f16_e64 v167, 0xb1e1, v34
	v_add_f16_e32 v107, v107, v106
	v_fma_f16 v177, 0xb964, v50, v164
	v_mul_f16_e32 v110, 0x3a62, v110
	v_add_f16_e64 v106, v176, v156
	v_add_f16_e64 v156, v175, v173
	v_mul_f16_e64 v175, 0xb461, v97
	v_fmac_f16_e64 v143, 0xba62, v19
	v_add_f16_e64 v159, v168, v159
	v_fma_f16 v109, v28, 0x2de8, -v109
	v_add_f16_e64 v146, v167, v146
	v_fmac_f16_e64 v164, 0x3964, v50
	v_fma_f16 v173, 0xb8d2, v30, v110
	v_mul_f16_e32 v111, 0xb5c8, v111
	v_fma_f16 v176, 0x3bb2, v51, v175
	v_add_f16_e64 v143, v143, v44
	v_fmac_f16_e64 v147, 0x3bb2, v26
	v_add_f16_e64 v109, v109, v159
	v_fma_f16 v110, v30, 0xb8d2, -v110
	v_add_f16_e64 v146, v164, v146
	v_fmac_f16_e64 v175, 0xbbb2, v51
	v_add_f16_e64 v156, v173, v156
	v_fma_f16 v173, 0x3b76, v33, v111
	v_mul_f16_e32 v119, 0xb1e1, v119
	v_add_f16_e64 v143, v147, v143
	v_fmac_f16_e64 v150, 0xb5c8, v27
	v_add_f16_e32 v109, v110, v109
	v_fma_f16 v110, v33, 0x3b76, -v111
	v_add_f16_e64 v111, v175, v146
	v_fma_f16 v146, v25, 0xb8d2, -v153
	v_add_f16_e64 v156, v173, v156
	v_fma_f16 v165, 0xbbdd, v52, v119
	v_mul_f16_e32 v122, 0x3964, v122
	v_add_f16_e64 v143, v150, v143
	v_fmac_f16_e64 v152, 0xb836, v29
	v_add_f16_e32 v109, v110, v109
	v_fma_f16 v110, v52, 0xbbdd, -v119
	v_add_f16_e64 v119, v146, v6
	v_fma_f16 v146, v59, 0xb461, -v157
	;; [unrolled: 9-line block ×3, first 2 shown]
	v_add_f16_e64 v143, v154, v143
	v_fmac_f16_e64 v149, 0xb964, v34
	v_add_f16_e32 v109, v110, v109
	v_fma_f16 v110, v57, 0xb461, -v124
	v_add_f16_e32 v119, v122, v119
	v_fma_f16 v122, v30, 0xbacd, -v162
	v_add_f16_e64 v156, v165, v156
	v_fma_f16 v165, 0xb461, v57, v124
	v_add_f16_e64 v124, v149, v143
	v_fmac_f16_e64 v158, 0xb1e1, v50
	v_add_f16_e32 v109, v110, v109
	v_fmac_f16_e64 v128, 0xbbb2, v19
	v_add_f16_e32 v110, v122, v119
	v_fma_f16 v119, v33, 0x2de8, -v161
	v_add_f16_e64 v122, v158, v124
	v_fmac_f16_e64 v129, 0x3836, v26
	v_add_f16_e64 v124, v128, v44
	v_fma_f16 v128, v25, 0xb461, -v135
	v_add_f16_e32 v110, v119, v110
	v_fma_f16 v119, v52, 0x39e9, -v166
	v_fmac_f16_e32 v121, 0xbbf7, v19
	v_add_f16_e64 v124, v129, v124
	v_add_f16_e64 v128, v128, v6
	v_fma_f16 v129, v59, 0xbacd, -v139
	v_add_f16_e32 v110, v119, v110
	v_fma_f16 v119, v55, 0xbbdd, -v169
	v_add_f16_e32 v121, v121, v44
	v_fmac_f16_e32 v120, 0xb1e1, v26
	v_add_f16_e64 v128, v129, v128
	v_fma_f16 v129, v28, 0x39e9, -v142
	v_add_f16_e32 v110, v119, v110
	v_fma_f16 v119, v57, 0x3722, -v171
	v_add_f16_e32 v120, v120, v121
	v_fmac_f16_e32 v126, 0x3bb2, v27
	v_fma_f16 v121, v52, 0x2de8, -v148
	v_fma_f16 v117, v25, 0x2de8, -v117
	v_add_f16_e32 v110, v119, v110
	v_add_f16_e64 v119, v129, v128
	v_fma_f16 v128, v30, 0x3722, -v144
	v_add_f16_e32 v120, v126, v120
	v_fmac_f16_e32 v125, 0x35c8, v29
	v_add_f16_e32 v117, v117, v6
	v_fma_f16 v114, v59, 0xbbdd, -v114
	v_add_f16_e64 v119, v128, v119
	v_fma_f16 v128, v33, 0xbbdd, -v141
	v_add_f16_e32 v120, v125, v120
	v_mul_f16_e32 v125, 0x3722, v62
	v_add_f16_e32 v114, v114, v117
	v_fma_f16 v115, v28, 0xb461, -v115
	v_add_f16_e64 v119, v128, v119
	v_fma_f16 v113, v30, 0x3b76, -v113
	v_add_f16_e32 v64, v64, v125
	v_alignbit_b32 v43, v43, v43, 16
	v_add_f16_e32 v114, v115, v114
	v_add_f16_e32 v119, v121, v119
	v_fma_f16 v121, v55, 0x3b76, -v151
	v_add_f16_e32 v64, v64, v44
	v_mul_f16_e32 v115, 0xbbdd, v66
	v_add_f16_e32 v113, v113, v114
	v_fma_f16 v114, v33, 0x3722, -v116
	v_add_f16_e32 v119, v121, v119
	v_fma_f16 v121, v57, 0xb8d2, -v155
	v_mul_f16_e32 v62, 0x39e9, v62
	v_mul_f16_e32 v66, 0xb8d2, v66
	v_add_f16_e32 v113, v114, v113
	v_fma_f16 v114, v52, 0xbacd, -v118
	v_add_f16_e32 v117, v121, v119
	v_mul_f16_e32 v119, 0xb8d2, v22
	v_add_f16_e32 v49, v49, v62
	v_add_f16_e32 v54, v54, v66
	v_mul_f16_e32 v62, 0xb8d2, v52
	v_fmac_f16_e64 v131, 0x3964, v27
	v_add_f16_e32 v72, v72, v119
	v_add_f16_e32 v44, v49, v44
	v_mul_f16_e32 v49, 0xbacd, v55
	v_fmac_f16_e64 v134, 0xbb29, v29
	v_add_f16_e64 v124, v131, v124
	v_add_f16_e32 v64, v72, v64
	v_add_f16_e32 v72, v75, v115
	v_mul_f16_e32 v75, 0xb461, v73
	v_mul_f16_e32 v73, 0xbbdd, v73
	v_fmac_f16_e32 v127, 0xbb29, v31
	v_add_f16_e64 v124, v134, v124
	v_add_f16_e32 v64, v72, v64
	v_add_f16_e32 v72, v79, v75
	;; [unrolled: 1-line block ×3, first 2 shown]
	v_fma_f16 v113, v55, 0xb8d2, -v132
	v_mul_f16_e32 v75, 0x39e9, v96
	v_fma_f16 v114, v57, 0x39e9, -v138
	v_add_f16_e32 v64, v72, v64
	v_mul_f16_e32 v96, 0xbacd, v96
	v_add_f16_e32 v79, v113, v79
	v_alignbit_b32 v113, v6, v6, 16
	v_add_f16_e32 v72, v101, v75
	v_mul_f16_e32 v101, 0x3b76, v95
	v_mul_f16_e32 v95, 0xb461, v95
	v_add_f16_e32 v79, v114, v79
	v_pk_add_f16 v7, v7, v113 op_sel:[0,1] op_sel_hi:[1,0]
	v_add_f16_e32 v64, v72, v64
	v_add_f16_e32 v101, v102, v101
	v_mul_f16_e32 v72, 0x3722, v25
	v_mul_f16_e32 v102, 0x3b76, v25
	v_pk_add_f16 v7, v43, v7
	v_mul_f16_e32 v114, 0x2de8, v100
	v_add_f16_e32 v64, v101, v64
	v_mul_f16_e32 v101, 0x2de8, v22
	v_sub_f16_e32 v61, v72, v61
	v_pk_add_f16 v7, v20, v7
	v_mul_f16_e32 v72, 0x39e9, v59
	v_mul_f16_e32 v59, 0xb8d2, v59
	v_add_f16_e32 v58, v58, v101
	v_add_f16_e32 v61, v61, v6
	v_pk_add_f16 v7, v17, v7
	v_sub_f16_e32 v17, v102, v35
	v_sub_f16_e32 v59, v59, v63
	v_add_f16_e32 v44, v58, v44
	v_mul_f16_e32 v63, 0x3722, v28
	v_pk_add_f16 v7, v18, v7
	v_add_f16_e32 v104, v104, v114
	v_mul_f16_e32 v114, 0xbbdd, v28
	v_add_f16_e32 v20, v54, v44
	v_add_f16_e32 v44, v60, v73
	v_pk_add_f16 v7, v15, v7
	v_add_f16_e32 v6, v17, v6
	v_sub_f16_e32 v17, v72, v36
	v_add_f16_e32 v59, v59, v61
	v_mul_f16_e32 v61, 0x2de8, v30
	v_pk_add_f16 v7, v16, v7
	v_sub_f16_e32 v65, v114, v65
	v_add_f16_e32 v20, v44, v20
	v_add_f16_e32 v35, v80, v96
	;; [unrolled: 1-line block ×3, first 2 shown]
	v_pk_add_f16 v7, v10, v7
	v_sub_f16_e32 v17, v63, v38
	v_add_f16_e32 v64, v104, v64
	v_mul_f16_e32 v104, 0xb461, v33
	v_add_f16_e32 v59, v65, v59
	v_pk_add_f16 v7, v11, v7
	v_mul_f16_e32 v65, 0x39e9, v33
	v_mul_f16_e32 v100, 0x3722, v100
	v_add_f16_e32 v18, v35, v20
	v_add_f16_e32 v20, v82, v95
	;; [unrolled: 1-line block ×3, first 2 shown]
	v_sub_f16_e32 v17, v61, v48
	v_pk_add_f16 v7, v8, v7
	v_mul_f16_e32 v114, 0xb461, v30
	v_sub_f16_e32 v65, v65, v81
	v_mul_f16_e32 v81, 0x3b76, v97
	v_add_f16_e32 v18, v20, v18
	v_add_f16_e32 v16, v92, v100
	;; [unrolled: 1-line block ×3, first 2 shown]
	v_sub_f16_e32 v11, v104, v56
	v_pk_add_f16 v7, v9, v7
	v_sub_f16_e32 v69, v114, v69
	v_add_f16_e32 v10, v16, v18
	v_add_f16_e32 v16, v94, v81
	;; [unrolled: 1-line block ×3, first 2 shown]
	v_sub_f16_e32 v8, v62, v78
	v_pk_add_f16 v4, v4, v7
	v_add_f16_e32 v59, v69, v59
	v_mul_f16_e32 v69, 0xbbdd, v57
	v_add_f16_e32 v10, v16, v10
	v_bfi_b32 v16, 0xffff, v32, v84
	v_add_f16_e32 v6, v8, v6
	v_sub_f16_e32 v8, v49, v83
	v_pk_add_f16 v4, v5, v4
	v_mul_f16_e32 v114, 0x3b76, v52
	v_mul_f16_e32 v58, 0xbacd, v97
	v_bfi_b32 v17, 0xffff, v37, v85
	v_add_f16_e32 v6, v8, v6
	v_sub_f16_e32 v8, v69, v91
	v_and_b32_e32 v5, 0xffff, v45
	v_pk_add_f16 v16, v16, v113
	v_pk_mul_f16 v25, 0xbbdd, v25 op_sel_hi:[0,1]
	v_pk_add_f16 v2, v2, v4
	v_mul_f16_e32 v101, 0x2de8, v55
	v_add_f16_e32 v58, v98, v58
	v_add_f16_e32 v59, v65, v59
	v_sub_f16_e32 v65, v114, v74
	v_bfi_b32 v11, 0xffff, v47, v86
	v_add_f16_e32 v6, v8, v6
	v_add_lshl_u32 v4, v23, v5, 2
	v_pk_add_f16 v5, v17, v16
	v_pk_fma_f16 v8, 0xb1e1, v19, v25 op_sel:[0,0,1] op_sel_hi:[0,1,0] neg_lo:[0,1,0] neg_hi:[0,1,0]
	v_pk_mul_f16 v16, 0x35c8, v26 op_sel_hi:[0,1]
	v_pk_add_f16 v2, v3, v2
	v_pk_fma_f16 v3, 0xb1e1, v19, v25 op_sel:[0,0,1] op_sel_hi:[0,1,0]
	v_mul_f16_e32 v43, 0xbacd, v57
	v_add_f16_e32 v54, v58, v64
	v_add_f16_e32 v58, v65, v59
	v_sub_f16_e32 v44, v101, v76
	v_bfi_b32 v18, 0xffff, v53, v87
	v_pk_add_f16 v5, v11, v5
	v_pk_add_f16 v8, v8, v113
	v_pk_fma_f16 v11, 0x3b76, v22, v16 op_sel_hi:[0,1,1] neg_lo:[0,0,1] neg_hi:[0,0,1]
	v_pk_mul_f16 v17, 0xbacd, v28 op_sel_hi:[0,1]
	v_pk_add_f16 v3, v3, v113
	v_pk_fma_f16 v16, 0x3b76, v22, v16 op_sel_hi:[0,1,1]
	v_add_f16_e32 v15, v44, v58
	v_sub_f16_e32 v20, v43, v77
	v_bfi_b32 v9, 0xffff, v67, v88
	v_pk_add_f16 v5, v18, v5
	v_pk_add_f16 v8, v11, v8
	v_pk_fma_f16 v11, 0xb836, v27, v17 op_sel:[0,0,1] op_sel_hi:[0,1,0] neg_lo:[0,1,0] neg_hi:[0,1,0]
	v_pk_mul_f16 v18, 0x39e9, v30 op_sel_hi:[0,1]
	v_pk_add_f16 v3, v16, v3
	v_pk_fma_f16 v16, 0xb836, v27, v17 op_sel:[0,0,1] op_sel_hi:[0,1,0]
	v_add_f16_e32 v15, v20, v15
	v_bfi_b32 v20, 0xffff, v68, v89
	v_pk_add_f16 v5, v9, v5
	v_pk_add_f16 v8, v11, v8
	v_pk_fma_f16 v9, 0x3964, v29, v18 op_sel:[0,0,1] op_sel_hi:[0,1,0] neg_lo:[0,1,0] neg_hi:[0,1,0]
	v_pk_mul_f16 v11, 0xb8d2, v33 op_sel_hi:[0,1]
	v_pk_add_f16 v3, v16, v3
	v_pk_fma_f16 v16, 0x3964, v29, v18 op_sel:[0,0,1] op_sel_hi:[0,1,0]
	v_fmac_f16_e64 v136, 0xb1e1, v31
	v_bfi_b32 v7, 0xffff, v70, v90
	v_pk_add_f16 v5, v20, v5
	v_pk_add_f16 v8, v9, v8
	v_pk_fma_f16 v9, 0xba62, v31, v11 op_sel:[0,0,1] op_sel_hi:[0,1,0] neg_lo:[0,1,0] neg_hi:[0,1,0]
	v_pk_mul_f16 v17, 0x3722, v52 op_sel_hi:[0,1]
	v_pk_add_f16 v3, v16, v3
	v_pk_fma_f16 v11, 0xba62, v31, v11 op_sel:[0,0,1] op_sel_hi:[0,1,0]
	v_add_f16_e32 v120, v127, v120
	v_fmac_f16_e32 v123, 0xb836, v34
	v_add_f16_e64 v124, v136, v124
	v_fmac_f16_e64 v137, 0x3bf7, v34
	v_pk_add_f16 v5, v7, v5
	v_pk_add_f16 v7, v9, v8
	v_pk_fma_f16 v8, 0x3b29, v34, v17 op_sel:[0,0,1] op_sel_hi:[0,1,0] neg_lo:[0,1,0] neg_hi:[0,1,0]
	v_pk_mul_f16 v9, 0xb461, v55 op_sel_hi:[0,1]
	v_pk_add_f16 v3, v11, v3
	v_pk_fma_f16 v11, 0x3b29, v34, v17 op_sel:[0,0,1] op_sel_hi:[0,1,0]
	v_add_f16_e32 v120, v123, v120
	v_fmac_f16_e64 v130, 0x3a62, v50
	v_add_f16_e64 v124, v137, v124
	v_fmac_f16_e64 v140, 0xb5c8, v50
	v_pk_add_f16 v7, v8, v7
	v_pk_fma_f16 v8, 0xbbb2, v50, v9 op_sel:[0,0,1] op_sel_hi:[0,1,0] neg_lo:[0,1,0] neg_hi:[0,1,0]
	v_pk_mul_f16 v16, 0x2de8, v57 op_sel_hi:[0,1]
	v_pk_add_f16 v3, v11, v3
	v_pk_fma_f16 v9, 0xbbb2, v50, v9 op_sel:[0,0,1] op_sel_hi:[0,1,0]
	v_bfi_b32 v32, 0xffff, v71, v93
	v_add_f16_e64 v115, v130, v120
	v_fmac_f16_e64 v133, 0x3964, v51
	v_fmac_f16_e64 v163, 0x3b29, v51
	v_add_f16_e64 v124, v140, v124
	v_fmac_f16_e64 v145, 0xba62, v51
	v_pk_add_f16 v7, v8, v7
	v_pk_fma_f16 v8, 0x3bf7, v51, v16 op_sel:[0,0,1] op_sel_hi:[0,1,0] neg_lo:[0,1,0] neg_hi:[0,1,0]
	v_pk_add_f16 v3, v9, v3
	v_pk_fma_f16 v9, 0x3bf7, v51, v16 op_sel:[0,0,1] op_sel_hi:[0,1,0]
	v_add_f16_e64 v107, v177, v107
	v_pk_add_f16 v5, v32, v5
	v_add_f16_e64 v75, v133, v115
	v_add_f16_e64 v122, v163, v122
	;; [unrolled: 1-line block ×3, first 2 shown]
	v_pk_add_f16 v2, v21, v2
	v_pack_b32_f16 v11, v109, v111
	v_pk_add_f16 v7, v8, v7
	v_pk_add_f16 v3, v9, v3
	v_add_f16_e64 v107, v176, v107
	v_add_f16_e64 v156, v165, v156
	v_alignbit_b32 v10, v10, v5, 16
	v_pack_b32_f16 v5, v6, v5
	v_pack_b32_f16 v6, v15, v54
	;; [unrolled: 1-line block ×5, first 2 shown]
	ds_store_2addr_b32 v4, v2, v11 offset1:7
	v_alignbit_b32 v2, v7, v3, 16
	v_alignbit_b32 v3, v3, v7, 16
	v_pack_b32_f16 v7, v106, v112
	v_pack_b32_f16 v11, v156, v107
	;; [unrolled: 1-line block ×4, first 2 shown]
	v_perm_b32 v18, v13, v1, 0x5040100
	v_perm_b32 v19, v24, v0, 0x5040100
	;; [unrolled: 1-line block ×3, first 2 shown]
	ds_store_2addr_b32 v4, v5, v10 offset0:1 offset1:2
	ds_store_2addr_b32 v4, v6, v8 offset0:3 offset1:4
	ds_store_2addr_b32 v4, v15, v9 offset0:5 offset1:6
	ds_store_2addr_b32 v4, v3, v2 offset0:8 offset1:9
	ds_store_2addr_b32 v4, v11, v7 offset0:10 offset1:11
	ds_store_2addr_b32 v4, v17, v16 offset0:12 offset1:13
	ds_store_2addr_b32 v4, v19, v18 offset0:14 offset1:15
	ds_store_b32 v4, v20 offset:64
.LBB0_7:
	s_wait_alu 0xfffe
	s_or_b32 exec_lo, exec_lo, s0
	v_add_lshl_u32 v44, v23, v41, 2
	global_wb scope:SCOPE_SE
	s_wait_dscnt 0x0
	s_barrier_signal -1
	s_barrier_wait -1
	global_inv scope:SCOPE_SE
	v_add_nc_u32_e32 v2, 0x400, v44
	v_cmp_gt_u16_e64 s0, 17, v41
	ds_load_2addr_b32 v[15:16], v44 offset1:34
	ds_load_2addr_b32 v[6:7], v44 offset0:204 offset1:255
	ds_load_2addr_b32 v[10:11], v44 offset0:68 offset1:102
	;; [unrolled: 1-line block ×6, first 2 shown]
	s_and_saveexec_b32 s1, s0
	s_cbranch_execz .LBB0_9
; %bb.8:
	v_add_nc_u32_e32 v0, 0x3b8, v44
	ds_load_2addr_b32 v[0:1], v0 offset1:255
	s_wait_dscnt 0x0
	v_lshrrev_b32_e32 v24, 16, v0
	v_lshrrev_b32_e32 v13, 16, v1
.LBB0_9:
	s_wait_alu 0xfffe
	s_or_b32 exec_lo, exec_lo, s1
	v_add_co_u32 v2, s1, 0x44, v41
	v_add_co_u32 v4, s6, v41, 34
	s_wait_alu 0xf1ff
	v_add_co_ci_u32_e64 v3, null, 0, 0, s1
	s_delay_alu instid0(VALU_DEP_3) | instskip(NEXT) | instid1(VALU_DEP_3)
	v_and_b32_e32 v26, 0xff, v2
	v_and_b32_e32 v25, 0xff, v4
	v_add_nc_u16 v36, v41, 0xaa
	v_add_nc_u16 v47, v41, 0xcc
	v_add_nc_u32_e32 v48, 0xee, v41
	v_mul_lo_u16 v27, 0xf1, v26
	v_mul_lo_u16 v25, 0xf1, v25
	v_add_co_u32 v26, s1, 0xffffffef, v41
	s_wait_alu 0xf1ff
	v_add_co_ci_u32_e64 v28, null, 0, -1, s1
	s_delay_alu instid0(VALU_DEP_3) | instskip(SKIP_2) | instid1(VALU_DEP_4)
	v_lshrrev_b16 v33, 12, v25
	v_lshrrev_b16 v34, 12, v27
	v_cndmask_b32_e64 v30, v26, v41, s0
	v_cndmask_b32_e64 v31, v28, 0, s0
	v_add_nc_u16 v25, v41, 0x66
	v_mul_lo_u16 v28, v33, 17
	v_mul_lo_u16 v29, v34, 17
	v_add_nc_u16 v26, v41, 0x88
	v_and_b32_e32 v50, 0xff, v36
	v_and_b32_e32 v51, 0xff, v47
	v_sub_nc_u16 v35, v4, v28
	v_sub_nc_u16 v32, v2, v29
	v_lshlrev_b64_e32 v[28:29], 2, v[30:31]
	v_and_b32_e32 v49, 0xff, v26
	v_and_b32_e32 v52, 0xffff, v48
	v_and_b32_e32 v37, 0xff, v35
	v_and_b32_e32 v38, 0xff, v32
	v_mad_u16 v33, v33, 34, v35
	v_add_co_u32 v31, s1, s2, v28
	v_and_b32_e32 v28, 0xff, v25
	s_wait_alu 0xf1ff
	v_add_co_ci_u32_e64 v32, s1, s3, v29, s1
	v_lshlrev_b32_e32 v37, 2, v37
	v_lshlrev_b32_e32 v43, 2, v38
	v_mul_lo_u16 v29, 0xf1, v28
	v_mul_lo_u16 v28, 0xf1, v49
	;; [unrolled: 1-line block ×4, first 2 shown]
	v_mul_u32_u24_e32 v51, 0xf0f1, v52
	v_lshrrev_b16 v57, 12, v29
	v_lshrrev_b16 v58, 12, v28
	;; [unrolled: 1-line block ×4, first 2 shown]
	v_lshrrev_b32_e32 v50, 20, v51
	global_load_b32 v54, v[31:32], off
	v_mul_lo_u16 v49, v57, 17
	v_mul_lo_u16 v51, v58, 17
	;; [unrolled: 1-line block ×5, first 2 shown]
	v_sub_nc_u16 v32, v25, v49
	v_sub_nc_u16 v49, v26, v51
	;; [unrolled: 1-line block ×5, first 2 shown]
	v_and_b32_e32 v32, 0xff, v32
	v_and_b32_e32 v61, 0xff, v49
	;; [unrolled: 1-line block ×5, first 2 shown]
	v_lshlrev_b32_e32 v31, 2, v32
	v_lshlrev_b32_e32 v48, 2, v61
	;; [unrolled: 1-line block ×5, first 2 shown]
	s_clause 0x6
	global_load_b32 v56, v37, s[2:3]
	global_load_b32 v55, v43, s[2:3]
	;; [unrolled: 1-line block ×7, first 2 shown]
	v_cmp_lt_u16_e64 s1, 16, v41
	s_wait_dscnt 0x5
	v_lshrrev_b32_e32 v37, 16, v7
	v_lshrrev_b32_e32 v31, 16, v15
	s_wait_dscnt 0x3
	v_lshrrev_b32_e32 v71, 16, v21
	v_lshrrev_b32_e32 v73, 16, v22
	s_wait_alu 0xf1ff
	v_cndmask_b32_e64 v52, 0, 34, s1
	v_and_b32_e32 v33, 0xff, v33
	s_wait_dscnt 0x2
	v_lshrrev_b32_e32 v75, 16, v19
	v_lshrrev_b32_e32 v77, 16, v20
	s_wait_dscnt 0x0
	v_lshrrev_b32_e32 v79, 16, v17
	v_add_nc_u32_e32 v30, v30, v52
	v_lshrrev_b32_e32 v81, 16, v18
	v_add_lshl_u32 v63, v23, v33, 2
	v_add_co_ci_u32_e64 v5, null, 0, 0, s6
	s_delay_alu instid0(VALU_DEP_4)
	v_add_lshl_u32 v52, v23, v30, 2
	v_and_b32_e32 v30, 0xffff, v34
	v_and_b32_e32 v34, 0xffff, v57
	v_and_b32_e32 v57, 0xffff, v58
	v_and_b32_e32 v58, 0xffff, v59
	v_and_b32_e32 v59, 0xffff, v60
	v_mul_u32_u24_e32 v30, 34, v30
	v_mul_u32_u24_e32 v34, 34, v34
	;; [unrolled: 1-line block ×5, first 2 shown]
	v_add_nc_u32_e32 v30, v30, v38
	v_add_nc_u32_e32 v32, v34, v32
	;; [unrolled: 1-line block ×5, first 2 shown]
	v_add_lshl_u32 v58, v23, v30, 2
	v_add_lshl_u32 v59, v23, v32, 2
	;; [unrolled: 1-line block ×5, first 2 shown]
	s_load_b128 s[4:7], s[4:5], 0x0
	v_lshrrev_b32_e32 v43, 16, v16
	v_lshrrev_b32_e32 v72, 16, v10
	;; [unrolled: 1-line block ×6, first 2 shown]
	global_wb scope:SCOPE_SE
	s_wait_loadcnt 0x0
	s_wait_kmcnt 0x0
	s_barrier_signal -1
	s_barrier_wait -1
	global_inv scope:SCOPE_SE
	v_lshrrev_b32_e32 v68, 16, v54
	s_delay_alu instid0(VALU_DEP_1) | instskip(SKIP_1) | instid1(VALU_DEP_2)
	v_mul_f16_e32 v38, v37, v68
	v_mul_f16_e32 v57, v7, v68
	v_fma_f16 v7, v7, v54, -v38
	s_delay_alu instid0(VALU_DEP_2) | instskip(NEXT) | instid1(VALU_DEP_2)
	v_fmac_f16_e32 v57, v37, v54
	v_sub_f16_e32 v7, v15, v7
	s_delay_alu instid0(VALU_DEP_2)
	v_sub_f16_e32 v30, v31, v57
	v_lshrrev_b32_e32 v70, 16, v56
	v_lshrrev_b32_e32 v69, 16, v55
	;; [unrolled: 1-line block ×7, first 2 shown]
	v_fma_f16 v15, v15, 2.0, -v7
	v_fma_f16 v31, v31, 2.0, -v30
	v_pack_b32_f16 v7, v7, v30
	v_mul_f16_e32 v30, v71, v70
	v_mul_f16_e32 v32, v21, v70
	;; [unrolled: 1-line block ×13, first 2 shown]
	v_pack_b32_f16 v15, v15, v31
	v_fma_f16 v21, v21, v56, -v30
	v_fmac_f16_e32 v32, v71, v56
	v_fma_f16 v22, v22, v55, -v33
	v_fmac_f16_e32 v34, v73, v55
	;; [unrolled: 2-line block ×5, first 2 shown]
	v_mul_f16_e32 v87, v1, v57
	v_fma_f16 v18, v18, v49, -v84
	v_fmac_f16_e32 v85, v81, v49
	v_fma_f16 v1, v1, v48, -v86
	ds_store_2addr_b32 v52, v15, v7 offset1:17
	v_sub_f16_e32 v7, v16, v21
	v_sub_f16_e32 v15, v43, v32
	;; [unrolled: 1-line block ×10, first 2 shown]
	v_fmac_f16_e32 v87, v13, v48
	v_sub_f16_e32 v18, v6, v18
	v_sub_f16_e32 v33, v80, v85
	;; [unrolled: 1-line block ×3, first 2 shown]
	v_fma_f16 v1, v16, 2.0, -v7
	v_fma_f16 v16, v43, 2.0, -v15
	;; [unrolled: 1-line block ×10, first 2 shown]
	v_sub_f16_e32 v94, v24, v87
	v_fma_f16 v6, v6, 2.0, -v18
	v_fma_f16 v38, v80, 2.0, -v33
	v_pack_b32_f16 v7, v7, v15
	v_pack_b32_f16 v1, v1, v16
	;; [unrolled: 1-line block ×12, first 2 shown]
	ds_store_2addr_b32 v63, v1, v7 offset1:17
	ds_store_2addr_b32 v58, v10, v15 offset1:17
	;; [unrolled: 1-line block ×6, first 2 shown]
	s_and_saveexec_b32 s1, s0
	s_cbranch_execz .LBB0_11
; %bb.10:
	v_fma_f16 v0, v0, 2.0, -v13
	v_fma_f16 v1, v24, 2.0, -v94
	v_add_lshl_u32 v6, v23, v47, 2
	v_perm_b32 v7, v94, v13, 0x5040100
	s_delay_alu instid0(VALU_DEP_3) | instskip(NEXT) | instid1(VALU_DEP_3)
	v_pack_b32_f16 v0, v0, v1
	v_add_nc_u32_e32 v1, 0x400, v6
	ds_store_2addr_b32 v1, v0, v7 offset0:220 offset1:237
.LBB0_11:
	s_wait_alu 0xfffe
	s_or_b32 exec_lo, exec_lo, s1
	v_lshlrev_b32_e32 v0, 3, v41
	global_wb scope:SCOPE_SE
	s_wait_dscnt 0x0
	s_barrier_signal -1
	s_barrier_wait -1
	global_inv scope:SCOPE_SE
	global_load_b64 v[15:16], v0, s[2:3] offset:68
	v_lshrrev_b16 v0, 13, v27
	v_lshrrev_b16 v1, 13, v29
	;; [unrolled: 1-line block ×3, first 2 shown]
	v_add_nc_u32_e32 v36, 0x400, v44
	v_lshlrev_b64_e32 v[4:5], 4, v[4:5]
	v_mul_lo_u16 v0, v0, 34
	v_mul_lo_u16 v1, v1, 34
	;; [unrolled: 1-line block ×3, first 2 shown]
	v_lshlrev_b32_e32 v34, 4, v41
	s_delay_alu instid0(VALU_DEP_4) | instskip(NEXT) | instid1(VALU_DEP_4)
	v_sub_nc_u16 v0, v2, v0
	v_sub_nc_u16 v1, v25, v1
	s_delay_alu instid0(VALU_DEP_4)
	v_sub_nc_u16 v6, v26, v6
	v_lshlrev_b64_e32 v[2:3], 4, v[2:3]
	v_add_co_u32 v4, s1, s2, v4
	v_and_b32_e32 v30, 0xff, v0
	v_and_b32_e32 v31, 0xff, v1
	;; [unrolled: 1-line block ×3, first 2 shown]
	s_wait_alu 0xf1ff
	v_add_co_ci_u32_e64 v5, s1, s3, v5, s1
	v_lshlrev_b32_e32 v0, 3, v30
	v_lshlrev_b32_e32 v1, 3, v31
	;; [unrolled: 1-line block ×3, first 2 shown]
	s_clause 0x2
	global_load_b64 v[21:22], v0, s[2:3] offset:68
	global_load_b64 v[19:20], v1, s[2:3] offset:68
	;; [unrolled: 1-line block ×3, first 2 shown]
	ds_load_2addr_b32 v[0:1], v44 offset1:34
	ds_load_2addr_b32 v[6:7], v44 offset0:136 offset1:170
	ds_load_2addr_b32 v[8:9], v44 offset0:204 offset1:238
	;; [unrolled: 1-line block ×4, first 2 shown]
	ds_load_b32 v33, v44 offset:1904
	ds_load_2addr_b32 v[26:27], v36 offset0:152 offset1:186
	ds_load_2addr_b32 v[28:29], v36 offset0:16 offset1:50
	v_add_lshl_u32 v73, v23, v30, 2
	v_add_lshl_u32 v72, v23, v31, 2
	v_add_lshl_u32 v71, v23, v32, 2
	global_wb scope:SCOPE_SE
	s_wait_loadcnt_dscnt 0x0
	s_barrier_signal -1
	s_barrier_wait -1
	global_inv scope:SCOPE_SE
	v_add_nc_u32_e32 v89, 0x400, v72
	v_add_nc_u32_e32 v90, 0x400, v71
	v_lshrrev_b32_e32 v35, 16, v0
	v_lshrrev_b32_e32 v37, 16, v7
	;; [unrolled: 1-line block ×17, first 2 shown]
	s_delay_alu instid0(VALU_DEP_2) | instskip(SKIP_1) | instid1(VALU_DEP_3)
	v_mul_f16_e32 v74, v37, v77
	v_mul_f16_e32 v76, v7, v77
	;; [unrolled: 1-line block ×8, first 2 shown]
	v_fma_f16 v7, v7, v15, -v74
	v_fmac_f16_e32 v76, v37, v15
	v_fma_f16 v24, v24, v16, -v78
	v_fmac_f16_e32 v91, v23, v16
	;; [unrolled: 2-line block ×4, first 2 shown]
	v_add_f16_e32 v25, v0, v7
	v_add_f16_e32 v30, v7, v24
	;; [unrolled: 1-line block ×5, first 2 shown]
	v_sub_f16_e32 v97, v80, v92
	v_add_f16_e32 v98, v38, v80
	v_add_f16_e32 v99, v80, v92
	v_lshrrev_b32_e32 v81, 16, v21
	v_lshrrev_b32_e32 v80, 16, v22
	v_add_f16_e32 v95, v1, v8
	v_lshrrev_b32_e32 v79, 16, v19
	v_lshrrev_b32_e32 v78, 16, v20
	v_sub_f16_e32 v37, v76, v91
	v_lshrrev_b32_e32 v76, 16, v17
	v_lshrrev_b32_e32 v74, 16, v18
	v_sub_f16_e32 v7, v7, v24
	v_sub_f16_e32 v8, v8, v23
	v_add_f16_e32 v24, v25, v24
	v_fma_f16 v0, -0.5, v30, v0
	v_add_f16_e32 v25, v43, v91
	v_fmac_f16_e32 v35, -0.5, v93
	v_fmac_f16_e32 v1, -0.5, v96
	v_add_f16_e32 v30, v98, v92
	v_fmac_f16_e32 v38, -0.5, v99
	v_mul_f16_e32 v43, v83, v81
	v_mul_f16_e32 v91, v9, v81
	;; [unrolled: 1-line block ×4, first 2 shown]
	v_add_f16_e32 v23, v95, v23
	v_mul_f16_e32 v95, v32, v79
	v_mul_f16_e32 v96, v28, v79
	;; [unrolled: 1-line block ×8, first 2 shown]
	v_fmamk_f16 v104, v37, 0x3aee, v0
	v_fmac_f16_e32 v0, 0xbaee, v37
	v_fmamk_f16 v37, v7, 0xbaee, v35
	v_fmac_f16_e32 v35, 0x3aee, v7
	;; [unrolled: 2-line block ×4, first 2 shown]
	v_pack_b32_f16 v8, v24, v25
	v_fma_f16 v9, v9, v21, -v43
	v_fmac_f16_e32 v91, v83, v21
	v_fma_f16 v24, v26, v22, -v92
	v_fmac_f16_e32 v93, v31, v22
	v_fma_f16 v25, v28, v19, -v95
	v_fmac_f16_e32 v96, v32, v19
	v_fma_f16 v26, v27, v20, -v98
	v_fmac_f16_e32 v99, v87, v20
	v_fma_f16 v27, v29, v17, -v100
	v_fmac_f16_e32 v101, v88, v17
	v_fma_f16 v28, v33, v18, -v102
	v_fmac_f16_e32 v103, v86, v18
	v_pack_b32_f16 v29, v104, v37
	v_pack_b32_f16 v0, v0, v35
	v_add_f16_e32 v31, v9, v24
	v_add_f16_e32 v35, v91, v93
	v_pack_b32_f16 v23, v23, v30
	v_pack_b32_f16 v7, v7, v97
	;; [unrolled: 1-line block ×3, first 2 shown]
	v_add_f16_e32 v38, v25, v26
	v_add_f16_e32 v86, v96, v99
	;; [unrolled: 1-line block ×5, first 2 shown]
	v_sub_f16_e32 v32, v91, v93
	v_add_f16_e32 v33, v82, v91
	v_sub_f16_e32 v9, v9, v24
	v_add_f16_e32 v37, v11, v25
	v_add_f16_e32 v83, v84, v96
	;; [unrolled: 1-line block ×3, first 2 shown]
	ds_store_2addr_b32 v44, v8, v29 offset1:34
	ds_store_2addr_b32 v44, v0, v23 offset0:68 offset1:102
	ds_store_2addr_b32 v44, v7, v1 offset0:136 offset1:170
	v_fma_f16 v1, -0.5, v31, v10
	v_fmac_f16_e32 v82, -0.5, v35
	v_sub_f16_e32 v43, v96, v99
	v_sub_f16_e32 v25, v25, v26
	v_fmac_f16_e32 v11, -0.5, v38
	v_fmac_f16_e32 v84, -0.5, v86
	v_sub_f16_e32 v91, v101, v103
	v_add_f16_e32 v92, v85, v101
	v_sub_f16_e32 v27, v27, v28
	v_fmac_f16_e32 v6, -0.5, v88
	v_fmac_f16_e32 v85, -0.5, v95
	v_add_f16_e32 v0, v30, v24
	v_add_f16_e32 v7, v33, v93
	;; [unrolled: 1-line block ×5, first 2 shown]
	v_fmamk_f16 v26, v32, 0x3aee, v1
	v_fmamk_f16 v28, v9, 0xbaee, v82
	v_fmac_f16_e32 v1, 0xbaee, v32
	v_fmac_f16_e32 v82, 0x3aee, v9
	v_fmamk_f16 v9, v43, 0x3aee, v11
	v_fmamk_f16 v29, v25, 0xbaee, v84
	v_fmac_f16_e32 v11, 0xbaee, v43
	v_fmac_f16_e32 v84, 0x3aee, v25
	v_add_f16_e32 v24, v92, v103
	v_fmamk_f16 v25, v91, 0x3aee, v6
	v_fmamk_f16 v30, v27, 0xbaee, v85
	v_fmac_f16_e32 v6, 0xbaee, v91
	v_fmac_f16_e32 v85, 0x3aee, v27
	v_pack_b32_f16 v0, v0, v7
	v_pack_b32_f16 v7, v8, v10
	;; [unrolled: 1-line block ×9, first 2 shown]
	ds_store_2addr_b32 v73, v0, v10 offset0:204 offset1:238
	ds_store_b32 v73, v1 offset:1088
	ds_store_2addr_b32 v89, v7, v9 offset0:50 offset1:84
	ds_store_b32 v72, v11 offset:1496
	;; [unrolled: 2-line block ×3, first 2 shown]
	v_add_co_u32 v0, s1, s2, v2
	s_wait_alu 0xf1ff
	v_add_co_ci_u32_e64 v1, s1, s3, v3, s1
	global_wb scope:SCOPE_SE
	s_wait_dscnt 0x0
	s_barrier_signal -1
	s_barrier_wait -1
	global_inv scope:SCOPE_SE
	s_clause 0x2
	global_load_b128 v[8:11], v34, s[2:3] offset:340
	global_load_b128 v[4:7], v[4:5], off offset:340
	global_load_b128 v[0:3], v[0:1], off offset:340
	ds_load_2addr_b32 v[25:26], v44 offset1:34
	ds_load_2addr_b32 v[23:24], v44 offset0:68 offset1:102
	ds_load_2addr_b32 v[28:29], v44 offset0:204 offset1:238
	;; [unrolled: 1-line block ×6, first 2 shown]
	ds_load_b32 v38, v44 offset:1904
	v_lshl_add_u32 v43, v41, 2, v42
	s_delay_alu instid0(VALU_DEP_1)
	v_add_nc_u32_e32 v27, 0x400, v43
	v_add_nc_u32_e32 v100, 0x200, v43
	s_wait_dscnt 0x7
	v_lshrrev_b32_e32 v99, 16, v25
	s_wait_dscnt 0x6
	v_lshrrev_b32_e32 v95, 16, v24
	;; [unrolled: 2-line block ×6, first 2 shown]
	v_lshrrev_b32_e32 v104, 16, v29
	s_wait_dscnt 0x1
	v_lshrrev_b32_e32 v105, 16, v36
	v_lshrrev_b32_e32 v106, 16, v33
	;; [unrolled: 1-line block ×5, first 2 shown]
	s_wait_dscnt 0x0
	v_lshrrev_b32_e32 v110, 16, v38
	v_lshrrev_b32_e32 v98, 16, v26
	v_lshrrev_b32_e32 v97, 16, v23
	s_wait_loadcnt 0x2
	v_lshrrev_b32_e32 v93, 16, v8
	v_lshrrev_b32_e32 v92, 16, v9
	v_lshrrev_b32_e32 v91, 16, v10
	v_lshrrev_b32_e32 v90, 16, v11
	s_wait_loadcnt 0x1
	v_lshrrev_b32_e32 v89, 16, v4
	v_lshrrev_b32_e32 v88, 16, v5
	v_lshrrev_b32_e32 v87, 16, v6
	v_lshrrev_b32_e32 v86, 16, v7
	s_wait_loadcnt 0x0
	v_lshrrev_b32_e32 v85, 16, v0
	v_lshrrev_b32_e32 v84, 16, v1
	v_lshrrev_b32_e32 v83, 16, v2
	;; [unrolled: 1-line block ×3, first 2 shown]
	v_mul_f16_e32 v111, v95, v93
	v_mul_f16_e32 v112, v24, v93
	v_mul_f16_e32 v113, v96, v92
	v_mul_f16_e32 v114, v28, v92
	v_mul_f16_e32 v115, v101, v91
	v_mul_f16_e32 v116, v31, v91
	v_mul_f16_e32 v117, v102, v90
	v_mul_f16_e32 v119, v103, v89
	v_mul_f16_e32 v121, v104, v88
	v_mul_f16_e32 v122, v29, v88
	v_mul_f16_e32 v123, v105, v87
	v_mul_f16_e32 v124, v36, v87
	v_mul_f16_e32 v118, v32, v90
	v_mul_f16_e32 v120, v34, v89
	v_mul_f16_e32 v125, v106, v86
	v_mul_f16_e32 v126, v33, v86
	v_mul_f16_e32 v127, v107, v85
	v_mul_f16_e64 v128, v35, v85
	v_mul_f16_e64 v129, v108, v84
	;; [unrolled: 1-line block ×7, first 2 shown]
	v_fma_f16 v24, v24, v8, -v111
	v_fmac_f16_e32 v112, v95, v8
	v_fma_f16 v28, v28, v9, -v113
	v_fmac_f16_e32 v114, v96, v9
	;; [unrolled: 2-line block ×3, first 2 shown]
	v_fma_f16 v96, v32, v11, -v117
	v_fma_f16 v31, v34, v4, -v119
	;; [unrolled: 1-line block ×3, first 2 shown]
	v_fmac_f16_e32 v122, v104, v5
	v_fma_f16 v34, v36, v6, -v123
	v_fmac_f16_e32 v124, v105, v6
	v_fmac_f16_e32 v118, v102, v11
	;; [unrolled: 1-line block ×3, first 2 shown]
	v_fma_f16 v101, v33, v7, -v125
	v_fmac_f16_e32 v126, v106, v7
	v_fma_f16 v32, v35, v0, -v127
	v_fmac_f16_e64 v128, v107, v0
	v_fma_f16 v30, v30, v1, -v129
	v_fmac_f16_e64 v130, v108, v1
	;; [unrolled: 2-line block ×4, first 2 shown]
	v_add_f16_e32 v35, v25, v24
	v_add_f16_e32 v36, v28, v95
	v_sub_f16_e32 v38, v24, v28
	v_sub_f16_e32 v102, v96, v95
	v_add_f16_e32 v103, v24, v96
	v_sub_f16_e32 v104, v28, v24
	v_sub_f16_e32 v107, v95, v96
	v_add_f16_e32 v108, v99, v112
	v_add_f16_e32 v109, v114, v116
	;; [unrolled: 1-line block ×4, first 2 shown]
	v_add_f16_e64 v137, v122, v124
	v_add_f16_e32 v113, v112, v118
	v_add_f16_e64 v131, v31, v101
	v_add_f16_e64 v142, v120, v126
	v_sub_f16_e32 v110, v24, v96
	v_sub_f16_e32 v24, v112, v114
	;; [unrolled: 1-line block ×3, first 2 shown]
	v_add_f16_e64 v136, v98, v120
	v_add_f16_e64 v144, v23, v32
	;; [unrolled: 1-line block ×7, first 2 shown]
	v_sub_f16_e32 v37, v112, v118
	v_sub_f16_e32 v115, v28, v95
	;; [unrolled: 1-line block ×4, first 2 shown]
	v_sub_f16_e64 v129, v101, v34
	v_sub_f16_e64 v133, v29, v31
	v_sub_f16_e64 v138, v31, v101
	v_sub_f16_e64 v139, v29, v34
	v_sub_f16_e64 v140, v120, v122
	v_sub_f16_e32 v120, v122, v120
	v_sub_f16_e64 v143, v124, v126
	v_sub_f16_e64 v148, v32, v30
	v_sub_f16_e64 v151, v30, v32
	v_sub_f16_e64 v155, v32, v105
	v_add_f16_e32 v28, v35, v28
	v_fma_f16 v32, -0.5, v36, v25
	v_add_f16_e64 v161, v38, v102
	v_fma_f16 v31, -0.5, v103, v25
	v_add_f16_e32 v107, v104, v107
	v_add_f16_e32 v25, v108, v114
	v_fma_f16 v104, -0.5, v109, v99
	v_add_f16_e32 v38, v119, v29
	v_fma_f16 v29, -0.5, v121, v26
	v_fma_f16 v103, -0.5, v137, v98
	v_sub_f16_e32 v106, v114, v116
	v_sub_f16_e32 v112, v114, v112
	;; [unrolled: 1-line block ×4, first 2 shown]
	v_fmac_f16_e32 v99, -0.5, v113
	v_fmac_f16_e64 v26, -0.5, v131
	v_fmac_f16_e64 v98, -0.5, v142
	v_sub_f16_e64 v146, v128, v134
	v_sub_f16_e64 v156, v30, v33
	v_add_f16_e32 v109, v24, v111
	v_add_f16_e64 v108, v136, v122
	v_add_f16_e64 v30, v144, v30
	v_fma_f16 v24, -0.5, v145, v23
	v_add_f16_e64 v111, v153, v130
	v_fma_f16 v102, -0.5, v154, v97
	v_sub_f16_e64 v147, v130, v132
	v_fmac_f16_e64 v23, -0.5, v150
	v_fmac_f16_e64 v97, -0.5, v159
	v_sub_f16_e64 v141, v126, v124
	v_add_f16_e64 v119, v127, v129
	v_add_f16_e64 v129, v120, v143
	v_add_f16_e32 v28, v28, v95
	v_fmamk_f16 v35, v37, 0x3b9c, v32
	v_add_f16_e32 v120, v25, v116
	v_fmamk_f16 v116, v110, 0xbb9c, v104
	;; [unrolled: 2-line block ×3, first 2 shown]
	v_fma_f16 v113, 0xbb9c, v138, v103
	v_sub_f16_e64 v135, v34, v101
	v_add_f16_e32 v114, v112, v117
	v_fmamk_f16 v36, v106, 0xbb9c, v31
	v_fmac_f16_e32 v31, 0x3b9c, v106
	v_fmamk_f16 v117, v115, 0x3b9c, v99
	v_fmac_f16_e32 v99, 0xbb9c, v115
	;; [unrolled: 2-line block ×3, first 2 shown]
	v_fma_f16 v112, 0x3b9c, v139, v98
	v_fmac_f16_e64 v98, 0xbb9c, v139
	v_sub_f16_e64 v149, v105, v33
	v_sub_f16_e64 v152, v33, v105
	;; [unrolled: 1-line block ×5, first 2 shown]
	v_add_f16_e32 v124, v108, v124
	v_add_f16_e32 v30, v30, v33
	v_fma_f16 v33, 0x3b9c, v146, v24
	v_add_f16_e64 v132, v111, v132
	v_fma_f16 v111, 0xbb9c, v155, v102
	v_sub_f16_e64 v128, v130, v128
	v_fma_f16 v34, 0xbb9c, v147, v23
	v_fma_f16 v108, 0x3b9c, v156, v97
	v_fmac_f16_e32 v32, 0xbb9c, v37
	v_fmac_f16_e32 v104, 0x3b9c, v110
	v_fmac_f16_e64 v23, 0x3b9c, v147
	v_fmac_f16_e64 v97, 0xbb9c, v156
	v_add_f16_e64 v122, v140, v141
	v_fmac_f16_e32 v29, 0xbb9c, v123
	v_fmac_f16_e64 v103, 0x3b9c, v138
	v_fmac_f16_e64 v24, 0xbb9c, v146
	;; [unrolled: 1-line block ×3, first 2 shown]
	v_add_f16_e32 v95, v28, v96
	v_fmac_f16_e32 v35, 0x38b4, v106
	v_add_f16_e32 v96, v120, v118
	v_fmac_f16_e32 v116, 0xb8b4, v115
	v_fmac_f16_e32 v38, 0x38b4, v125
	v_fmac_f16_e64 v113, 0xb8b4, v139
	v_add_f16_e64 v127, v133, v135
	v_fmac_f16_e32 v31, 0xb8b4, v37
	v_fmac_f16_e32 v99, 0x38b4, v110
	;; [unrolled: 1-line block ×3, first 2 shown]
	v_fmac_f16_e64 v98, 0x38b4, v138
	v_add_f16_e64 v131, v148, v149
	v_add_f16_e64 v130, v157, v158
	v_fmac_f16_e32 v36, 0x38b4, v37
	v_fmac_f16_e32 v117, 0xb8b4, v110
	v_add_f16_e32 v37, v121, v101
	v_add_f16_e32 v121, v124, v126
	;; [unrolled: 1-line block ×3, first 2 shown]
	v_fmac_f16_e64 v33, 0x38b4, v147
	v_add_f16_e64 v120, v132, v134
	v_fmac_f16_e64 v111, 0xb8b4, v156
	v_add_f16_e64 v133, v151, v152
	v_add_f16_e64 v128, v128, v160
	v_fmac_f16_e32 v25, 0x38b4, v123
	v_fmac_f16_e64 v112, 0xb8b4, v138
	v_fmac_f16_e64 v34, 0x38b4, v146
	;; [unrolled: 1-line block ×3, first 2 shown]
	v_fmac_f16_e32 v32, 0xb8b4, v106
	v_fmac_f16_e32 v104, 0x38b4, v115
	v_fmac_f16_e64 v23, 0xb8b4, v146
	v_fmac_f16_e64 v97, 0x38b4, v155
	v_fmac_f16_e32 v29, 0xb8b4, v125
	v_fmac_f16_e64 v103, 0x38b4, v139
	v_fmac_f16_e64 v24, 0xb8b4, v147
	v_fmac_f16_e64 v102, 0x38b4, v156
	v_fmac_f16_e64 v35, 0x34f2, v161
	v_fmac_f16_e32 v116, 0x34f2, v109
	v_fmac_f16_e32 v38, 0x34f2, v119
	;; [unrolled: 1-line block ×3, first 2 shown]
	v_pack_b32_f16 v28, v95, v96
	v_fmac_f16_e32 v31, 0x34f2, v107
	v_fmac_f16_e32 v99, 0x34f2, v114
	;; [unrolled: 1-line block ×3, first 2 shown]
	v_fmac_f16_e64 v98, 0x34f2, v129
	v_fmac_f16_e32 v36, 0x34f2, v107
	v_fmac_f16_e32 v117, 0x34f2, v114
	v_fmac_f16_e64 v33, 0x34f2, v131
	v_fmac_f16_e64 v111, 0x34f2, v130
	v_pack_b32_f16 v101, v37, v121
	v_pack_b32_f16 v105, v30, v120
	v_fmac_f16_e32 v25, 0x34f2, v127
	v_fmac_f16_e64 v112, 0x34f2, v129
	v_fmac_f16_e64 v34, 0x34f2, v133
	;; [unrolled: 1-line block ×4, first 2 shown]
	v_fmac_f16_e32 v104, 0x34f2, v109
	v_fmac_f16_e64 v23, 0x34f2, v133
	v_fmac_f16_e64 v97, 0x34f2, v128
	v_fmac_f16_e32 v29, 0x34f2, v119
	v_fmac_f16_e32 v103, 0x34f2, v122
	v_fmac_f16_e64 v24, 0x34f2, v131
	v_fmac_f16_e64 v102, 0x34f2, v130
	ds_store_b32 v43, v28
	v_pack_b32_f16 v28, v35, v116
	v_pack_b32_f16 v110, v38, v113
	;; [unrolled: 1-line block ×5, first 2 shown]
	ds_store_2addr_b32 v43, v101, v105 offset0:34 offset1:68
	v_pack_b32_f16 v101, v33, v111
	v_pack_b32_f16 v114, v25, v112
	;; [unrolled: 1-line block ×7, first 2 shown]
	ds_store_2addr_b32 v43, v28, v110 offset0:102 offset1:136
	ds_store_2addr_b32 v27, v107, v115 offset0:50 offset1:84
	;; [unrolled: 1-line block ×6, first 2 shown]
	global_wb scope:SCOPE_SE
	s_wait_dscnt 0x0
	s_barrier_signal -1
	s_barrier_wait -1
	global_inv scope:SCOPE_SE
	s_and_saveexec_b32 s1, vcc_lo
	s_cbranch_execz .LBB0_13
; %bb.12:
	global_load_b32 v28, v40, s[12:13] offset:2040
	s_add_nc_u64 s[2:3], s[12:13], 0x7f8
	s_clause 0xf
	global_load_b32 v107, v40, s[2:3] offset:120
	global_load_b32 v128, v40, s[2:3] offset:240
	;; [unrolled: 1-line block ×16, first 2 shown]
	ds_load_b32 v100, v43
	s_wait_dscnt 0x0
	v_lshrrev_b32_e32 v101, 16, v100
	s_wait_loadcnt 0xf
	v_lshrrev_b32_e32 v143, 16, v107
	s_wait_loadcnt 0xe
	;; [unrolled: 2-line block ×11, first 2 shown]
	v_lshrrev_b32_e32 v153, 16, v138
	v_lshrrev_b32_e32 v105, 16, v28
	s_wait_loadcnt 0x3
	v_lshrrev_b32_e32 v154, 16, v139
	s_wait_loadcnt 0x2
	;; [unrolled: 2-line block ×4, first 2 shown]
	v_lshrrev_b32_e32 v157, 16, v142
	v_mul_f16_e32 v106, v101, v105
	v_mul_f16_e32 v105, v100, v105
	s_delay_alu instid0(VALU_DEP_2) | instskip(NEXT) | instid1(VALU_DEP_2)
	v_fma_f16 v100, v100, v28, -v106
	v_fmac_f16_e32 v105, v101, v28
	s_delay_alu instid0(VALU_DEP_1)
	v_pack_b32_f16 v28, v100, v105
	ds_store_b32 v43, v28
	ds_load_2addr_b32 v[100:101], v43 offset0:30 offset1:60
	ds_load_2addr_b32 v[105:106], v43 offset0:90 offset1:120
	;; [unrolled: 1-line block ×8, first 2 shown]
	v_lshrrev_b32_e32 v28, 16, v131
	s_wait_dscnt 0x7
	v_lshrrev_b32_e32 v158, 16, v100
	v_lshrrev_b32_e32 v160, 16, v101
	s_wait_dscnt 0x6
	v_lshrrev_b32_e32 v162, 16, v105
	;; [unrolled: 3-line block ×5, first 2 shown]
	v_lshrrev_b32_e32 v176, 16, v119
	v_mul_f16_e64 v159, v100, v143
	v_mul_f16_e64 v161, v101, v144
	s_wait_dscnt 0x2
	v_lshrrev_b32_e32 v178, 16, v122
	v_lshrrev_b32_e32 v180, 16, v123
	s_wait_dscnt 0x1
	v_lshrrev_b32_e32 v182, 16, v124
	v_lshrrev_b32_e32 v184, 16, v125
	;; [unrolled: 3-line block ×3, first 2 shown]
	v_mul_f16_e64 v143, v158, v143
	v_mul_f16_e64 v144, v160, v144
	;; [unrolled: 1-line block ×24, first 2 shown]
	v_fmac_f16_e64 v159, v158, v107
	v_fmac_f16_e64 v161, v160, v128
	v_mul_f16_e64 v152, v178, v152
	v_mul_f16_e64 v153, v180, v153
	;; [unrolled: 1-line block ×6, first 2 shown]
	v_fma_f16 v100, v100, v107, -v143
	v_fma_f16 v101, v101, v128, -v144
	v_fmac_f16_e64 v163, v162, v129
	v_fmac_f16_e64 v165, v164, v130
	v_fma_f16 v105, v105, v129, -v145
	v_fma_f16 v106, v106, v130, -v146
	v_fmac_f16_e64 v167, v166, v131
	v_fmac_f16_e64 v169, v168, v132
	;; [unrolled: 4-line block ×5, first 2 shown]
	v_fmac_f16_e64 v183, v182, v139
	v_fmac_f16_e64 v185, v184, v140
	;; [unrolled: 1-line block ×4, first 2 shown]
	v_fma_f16 v118, v122, v137, -v152
	v_fma_f16 v119, v123, v138, -v153
	;; [unrolled: 1-line block ×6, first 2 shown]
	v_pack_b32_f16 v100, v100, v159
	v_pack_b32_f16 v101, v101, v161
	v_pack_b32_f16 v105, v105, v163
	v_pack_b32_f16 v106, v106, v165
	v_pack_b32_f16 v28, v28, v167
	v_pack_b32_f16 v107, v107, v169
	v_pack_b32_f16 v109, v109, v171
	v_pack_b32_f16 v110, v110, v173
	v_pack_b32_f16 v114, v114, v175
	v_pack_b32_f16 v115, v115, v177
	v_pack_b32_f16 v118, v118, v179
	v_pack_b32_f16 v119, v119, v181
	v_pack_b32_f16 v122, v122, v183
	v_pack_b32_f16 v123, v123, v185
	v_pack_b32_f16 v124, v124, v187
	v_pack_b32_f16 v125, v125, v189
	ds_store_2addr_b32 v43, v100, v101 offset0:30 offset1:60
	ds_store_2addr_b32 v43, v105, v106 offset0:90 offset1:120
	;; [unrolled: 1-line block ×8, first 2 shown]
.LBB0_13:
	s_wait_alu 0xfffe
	s_or_b32 exec_lo, exec_lo, s1
	global_wb scope:SCOPE_SE
	s_wait_dscnt 0x0
	s_barrier_signal -1
	s_barrier_wait -1
	global_inv scope:SCOPE_SE
	s_and_saveexec_b32 s1, vcc_lo
	s_cbranch_execz .LBB0_15
; %bb.14:
	v_add_nc_u32_e32 v13, 0x400, v43
	ds_load_b32 v95, v43
	ds_load_2addr_b32 v[35:36], v43 offset0:30 offset1:60
	ds_load_2addr_b32 v[31:32], v43 offset0:90 offset1:120
	;; [unrolled: 1-line block ×8, first 2 shown]
	s_wait_dscnt 0x5
	v_lshrrev_b32_e32 v121, 16, v37
	v_lshrrev_b32_e32 v96, 16, v95
	;; [unrolled: 1-line block ×7, first 2 shown]
	s_wait_dscnt 0x4
	v_lshrrev_b32_e32 v112, 16, v25
	v_lshrrev_b32_e32 v98, 16, v26
	s_wait_dscnt 0x3
	v_lshrrev_b32_e32 v103, 16, v29
	v_lshrrev_b32_e32 v120, 16, v30
	;; [unrolled: 3-line block ×5, first 2 shown]
.LBB0_15:
	s_wait_alu 0xfffe
	s_or_b32 exec_lo, exec_lo, s1
	s_delay_alu instid0(VALU_DEP_1)
	v_sub_f16_e64 v135, v116, v46
	v_add_f16_e32 v109, v46, v116
	v_add_f16_e32 v105, v14, v35
	v_sub_f16_e32 v106, v35, v14
	v_add_f16_e32 v114, v94, v117
	v_mul_f16_e64 v145, 0xb964, v135
	v_mul_f16_e64 v147, 0x39e9, v109
	v_sub_f16_e64 v138, v117, v94
	v_add_f16_e32 v107, v13, v36
	v_mul_f16_e64 v152, 0xbb29, v135
	v_fma_f16 v27, v105, 0x39e9, -v145
	v_fma_f16 v28, 0xb964, v106, v147
	v_mul_f16_e64 v153, 0x3722, v109
	v_mul_f16_e64 v146, 0xbbf7, v138
	v_sub_f16_e32 v110, v36, v13
	v_mul_f16_e64 v149, 0x2de8, v114
	v_add_f16_e32 v27, v95, v27
	v_add_f16_e32 v28, v96, v28
	v_fma_f16 v100, v105, 0x3722, -v152
	v_fma_f16 v101, 0xbb29, v106, v153
	v_fma_f16 v115, v107, 0x2de8, -v146
	v_sub_f16_e64 v139, v99, v102
	v_fma_f16 v118, 0xbbf7, v110, v149
	v_mul_f16_e64 v156, 0xba62, v138
	v_mul_f16_e64 v157, 0xb8d2, v114
	v_add_f16_e32 v123, v102, v99
	v_add_f16_e32 v100, v95, v100
	;; [unrolled: 1-line block ×5, first 2 shown]
	v_mul_f16_e64 v148, 0xba62, v139
	v_add_f16_e32 v28, v118, v28
	v_fma_f16 v119, v107, 0xb8d2, -v156
	v_fma_f16 v122, 0xba62, v110, v157
	v_sub_f16_e32 v118, v31, v24
	v_mul_f16_e64 v151, 0xb8d2, v123
	v_sub_f16_e64 v140, v104, v97
	v_fma_f16 v124, v115, 0xb8d2, -v148
	v_add_f16_e32 v100, v119, v100
	v_add_f16_e32 v101, v122, v101
	v_fma_f16 v122, 0xba62, v118, v151
	v_mul_f16_e64 v160, 0x31e1, v139
	v_mul_f16_e64 v161, 0xbbdd, v123
	v_add_f16_e32 v119, v23, v32
	v_mul_f16_e64 v150, 0xb1e1, v140
	v_add_f16_e32 v126, v97, v104
	v_add_f16_e32 v27, v124, v27
	;; [unrolled: 1-line block ×3, first 2 shown]
	v_fma_f16 v124, v115, 0xbbdd, -v160
	v_fma_f16 v125, 0x31e1, v118, v161
	v_fma_f16 v127, v119, 0xbbdd, -v150
	v_sub_f16_e32 v122, v32, v23
	v_mul_f16_e64 v155, 0xbbdd, v126
	v_sub_f16_e64 v141, v121, v108
	v_mul_f16_e64 v164, 0x3bb2, v140
	v_mul_f16_e64 v166, 0xb461, v126
	v_add_f16_e64 v129, v108, v121
	v_add_f16_e32 v100, v124, v100
	v_add_f16_e32 v101, v125, v101
	;; [unrolled: 1-line block ×3, first 2 shown]
	v_fma_f16 v127, 0xb1e1, v122, v155
	v_add_f16_e32 v124, v34, v37
	v_mul_f16_e64 v154, 0x3836, v141
	v_fma_f16 v128, v119, 0xb461, -v164
	v_fma_f16 v130, 0x3bb2, v122, v166
	v_sub_f16_e32 v125, v37, v34
	v_mul_f16_e64 v159, 0xbacd, v129
	v_sub_f16_e64 v142, v113, v111
	v_add_f16_e64 v132, v111, v113
	v_fma_f16 v131, v124, 0xbacd, -v154
	v_add_f16_e32 v28, v127, v28
	v_add_f16_e64 v100, v128, v100
	v_add_f16_e64 v101, v130, v101
	v_fma_f16 v130, 0x3836, v125, v159
	v_mul_f16_e64 v167, 0x3964, v141
	v_mul_f16_e64 v171, 0x39e9, v129
	v_add_f16_e32 v127, v33, v38
	v_mul_f16_e64 v158, 0x3bb2, v142
	v_sub_f16_e64 v128, v38, v33
	v_mul_f16_e64 v162, 0xb461, v132
	v_add_f16_e64 v27, v131, v27
	v_fma_f16 v131, v124, 0x39e9, -v167
	v_fma_f16 v133, 0x3964, v125, v171
	v_fma_f16 v134, v127, 0xb461, -v158
	v_add_f16_e64 v28, v130, v28
	v_fma_f16 v130, 0x3bb2, v128, v162
	v_mul_f16_e64 v170, 0xb5c8, v142
	v_sub_f16_e64 v143, v112, v120
	v_add_f16_e64 v100, v131, v100
	v_add_f16_e64 v101, v133, v101
	v_add_f16_e64 v27, v134, v27
	v_add_f16_e64 v28, v130, v28
	v_mul_f16_e64 v175, 0x3b76, v132
	v_add_f16_e64 v133, v120, v112
	v_fma_f16 v134, v127, 0x3b76, -v170
	v_add_f16_e64 v130, v30, v25
	v_mul_f16_e64 v173, 0xbbf7, v143
	v_mul_f16_e64 v163, 0x3b29, v143
	v_sub_f16_e64 v131, v25, v30
	v_mul_f16_e64 v165, 0x3722, v133
	v_fma_f16 v136, 0xb5c8, v128, v175
	v_add_f16_e64 v100, v134, v100
	v_fma_f16 v144, v130, 0x2de8, -v173
	v_fma_f16 v137, v130, 0x3722, -v163
	v_fma_f16 v134, 0x3b29, v131, v165
	v_add_f16_e64 v101, v136, v101
	v_mul_f16_e64 v176, 0x2de8, v133
	v_add_f16_e64 v100, v144, v100
	v_sub_f16_e64 v144, v98, v103
	v_add_f16_e64 v136, v103, v98
	v_add_f16_e64 v27, v137, v27
	;; [unrolled: 1-line block ×3, first 2 shown]
	v_fma_f16 v28, 0xbbf7, v131, v176
	v_add_f16_e64 v134, v29, v26
	v_sub_f16_e64 v137, v26, v29
	v_mul_f16_e64 v168, 0x35c8, v144
	v_mul_f16_e64 v169, 0x3b76, v136
	;; [unrolled: 1-line block ×4, first 2 shown]
	v_add_f16_e64 v178, v28, v101
	v_fma_f16 v28, v134, 0x3b76, -v168
	v_fma_f16 v101, 0x35c8, v137, v169
	v_fma_f16 v179, v134, 0xbacd, -v172
	v_fma_f16 v180, 0xb836, v137, v174
	global_wb scope:SCOPE_SE
	v_add_f16_e32 v28, v28, v27
	v_add_f16_e64 v101, v101, v177
	v_add_f16_e64 v27, v179, v100
	;; [unrolled: 1-line block ×3, first 2 shown]
	s_barrier_signal -1
	s_barrier_wait -1
	global_inv scope:SCOPE_SE
	s_and_saveexec_b32 s1, vcc_lo
	s_cbranch_execz .LBB0_17
; %bb.16:
	v_add_f16_e32 v35, v35, v95
	v_and_b32_e32 v45, 0xffff, v45
	v_mul_f16_e64 v181, 0x3bb2, v110
	v_mul_f16_e64 v188, 0x3bb2, v138
	s_delay_alu instid0(VALU_DEP_4) | instskip(NEXT) | instid1(VALU_DEP_4)
	v_add_f16_e32 v35, v36, v35
	v_lshl_add_u32 v45, v45, 2, v42
	s_delay_alu instid0(VALU_DEP_4) | instskip(NEXT) | instid1(VALU_DEP_4)
	v_fma_f16 v182, v114, 0xb461, -v181
	v_fma_f16 v189, v107, 0xb461, -v188
	v_fmac_f16_e64 v188, 0xb461, v107
	v_add_f16_e32 v31, v31, v35
	s_delay_alu instid0(VALU_DEP_1) | instskip(SKIP_1) | instid1(VALU_DEP_2)
	v_add_f16_e32 v31, v32, v31
	v_mul_f16_e64 v32, 0xb5c8, v135
	v_add_f16_e32 v31, v37, v31
	s_delay_alu instid0(VALU_DEP_1) | instskip(NEXT) | instid1(VALU_DEP_1)
	v_add_f16_e32 v31, v38, v31
	v_add_f16_e32 v25, v25, v31
	s_delay_alu instid0(VALU_DEP_1) | instskip(SKIP_1) | instid1(VALU_DEP_2)
	v_add_f16_e32 v25, v26, v25
	v_mul_f16_e64 v26, 0xb964, v138
	v_add_f16_e32 v25, v29, v25
	s_delay_alu instid0(VALU_DEP_2) | instskip(SKIP_1) | instid1(VALU_DEP_3)
	v_fmamk_f16 v29, v107, 0x39e9, v26
	v_fma_f16 v26, v107, 0x39e9, -v26
	v_add_f16_e32 v25, v30, v25
	s_delay_alu instid0(VALU_DEP_1) | instskip(NEXT) | instid1(VALU_DEP_1)
	v_add_f16_e32 v25, v33, v25
	v_add_f16_e32 v25, v34, v25
	s_delay_alu instid0(VALU_DEP_1) | instskip(NEXT) | instid1(VALU_DEP_1)
	v_add_f16_e32 v23, v23, v25
	v_add_f16_e32 v23, v24, v23
	s_delay_alu instid0(VALU_DEP_1) | instskip(SKIP_1) | instid1(VALU_DEP_2)
	v_add_f16_e32 v13, v13, v23
	v_mul_f16_e32 v23, 0x3b76, v109
	v_add_f16_e64 v177, v14, v13
	v_add_f16_e32 v13, v116, v96
	s_delay_alu instid0(VALU_DEP_1) | instskip(NEXT) | instid1(VALU_DEP_1)
	v_add_f16_e32 v13, v117, v13
	v_add_f16_e32 v14, v99, v13
	v_fmamk_f16 v13, v106, 0x35c8, v23
	v_fmac_f16_e32 v23, 0xb5c8, v106
	s_delay_alu instid0(VALU_DEP_2) | instskip(SKIP_1) | instid1(VALU_DEP_3)
	v_add_f16_e32 v24, v96, v13
	v_mul_f16_e32 v13, 0x39e9, v114
	v_add_f16_e32 v23, v96, v23
	s_delay_alu instid0(VALU_DEP_2) | instskip(SKIP_1) | instid1(VALU_DEP_2)
	v_fmamk_f16 v25, v110, 0x3964, v13
	v_fmac_f16_e32 v13, 0xb964, v110
	v_add_f16_e32 v24, v25, v24
	v_fmamk_f16 v25, v105, 0x3b76, v32
	v_fma_f16 v32, v105, 0x3b76, -v32
	s_delay_alu instid0(VALU_DEP_4) | instskip(NEXT) | instid1(VALU_DEP_3)
	v_add_f16_e32 v13, v13, v23
	v_add_f16_e32 v25, v95, v25
	s_delay_alu instid0(VALU_DEP_3) | instskip(NEXT) | instid1(VALU_DEP_2)
	v_add_f16_e32 v32, v95, v32
	v_add_f16_e32 v25, v29, v25
	v_add_f16_e32 v29, v104, v14
	v_mul_f16_e32 v14, 0x3722, v123
	v_mul_f16_e32 v104, 0xb8d2, v107
	v_add_f16_e32 v23, v26, v32
	s_delay_alu instid0(VALU_DEP_3) | instskip(NEXT) | instid1(VALU_DEP_3)
	v_fmamk_f16 v30, v118, 0x3b29, v14
	v_add_f16_e64 v104, v104, v156
	v_mul_f16_e64 v156, 0xb1e1, v138
	v_fmac_f16_e32 v14, 0xbb29, v118
	s_delay_alu instid0(VALU_DEP_4) | instskip(SKIP_4) | instid1(VALU_DEP_4)
	v_add_f16_e32 v31, v30, v24
	v_mul_f16_e64 v30, 0xbb29, v139
	v_add_f16_e32 v24, v121, v29
	v_mul_f16_e32 v121, 0xb1e1, v110
	v_add_f16_e32 v13, v14, v13
	v_fmamk_f16 v29, v115, 0x3722, v30
	v_fma_f16 v26, v115, 0x3722, -v30
	s_delay_alu instid0(VALU_DEP_2) | instskip(SKIP_4) | instid1(VALU_DEP_4)
	v_add_f16_e32 v25, v29, v25
	v_add_f16_e32 v29, v113, v24
	v_mul_f16_e32 v24, 0x2de8, v126
	v_mul_f16_e64 v113, 0xb836, v137
	v_add_f16_e32 v14, v26, v23
	v_add_f16_e32 v29, v112, v29
	s_delay_alu instid0(VALU_DEP_4)
	v_fmamk_f16 v33, v122, 0x3bf7, v24
	v_mul_f16_e32 v112, 0x2de8, v107
	v_sub_f16_e64 v113, v174, v113
	v_fmac_f16_e32 v24, 0xbbf7, v122
	v_add_f16_e32 v29, v98, v29
	v_add_f16_e32 v31, v33, v31
	v_mul_f16_e64 v33, 0xbbf7, v140
	v_add_f16_e64 v112, v112, v146
	v_add_f16_e32 v13, v24, v13
	v_add_f16_e32 v29, v103, v29
	v_mul_f16_e32 v103, 0x3722, v105
	v_fmamk_f16 v34, v119, 0x2de8, v33
	v_fma_f16 v23, v119, 0x2de8, -v33
	s_delay_alu instid0(VALU_DEP_3) | instskip(NEXT) | instid1(VALU_DEP_3)
	v_add_f16_e64 v103, v103, v152
	v_add_f16_e32 v34, v34, v25
	v_mul_f16_e64 v25, 0xb461, v129
	s_delay_alu instid0(VALU_DEP_4) | instskip(NEXT) | instid1(VALU_DEP_4)
	v_add_f16_e32 v14, v23, v14
	v_add_f16_e32 v103, v95, v103
	s_delay_alu instid0(VALU_DEP_3) | instskip(SKIP_1) | instid1(VALU_DEP_3)
	v_fmamk_f16 v35, v125, 0x3bb2, v25
	v_fmac_f16_e32 v25, 0xbbb2, v125
	v_add_f16_e32 v103, v104, v103
	v_mul_f16_e32 v104, 0xbbdd, v115
	s_delay_alu instid0(VALU_DEP_4) | instskip(SKIP_2) | instid1(VALU_DEP_4)
	v_add_f16_e32 v31, v35, v31
	v_mul_f16_e64 v35, 0xbbb2, v141
	v_add_f16_e32 v13, v25, v13
	v_add_f16_e64 v104, v104, v160
	s_delay_alu instid0(VALU_DEP_3) | instskip(SKIP_1) | instid1(VALU_DEP_3)
	v_fmamk_f16 v36, v124, 0xb461, v35
	v_fma_f16 v23, v124, 0xb461, -v35
	v_add_f16_e32 v103, v104, v103
	v_mul_f16_e32 v104, 0xb461, v119
	s_delay_alu instid0(VALU_DEP_4) | instskip(SKIP_4) | instid1(VALU_DEP_3)
	v_add_f16_e32 v34, v36, v34
	v_add_f16_e32 v36, v120, v29
	v_mul_f16_e64 v29, 0xb8d2, v132
	v_add_f16_e32 v14, v23, v14
	v_add_f16_e64 v104, v104, v164
	v_fma_f16 v37, 0x3a62, v128, v29
	v_fmac_f16_e64 v29, 0xba62, v128
	s_delay_alu instid0(VALU_DEP_3) | instskip(SKIP_1) | instid1(VALU_DEP_4)
	v_add_f16_e32 v103, v104, v103
	v_mul_f16_e32 v104, 0x39e9, v124
	v_add_f16_e32 v37, v37, v31
	v_add_f16_e32 v31, v111, v36
	v_mul_f16_e64 v36, 0xba62, v142
	v_mul_f16_e32 v111, 0xbbf7, v110
	v_add_f16_e64 v104, v104, v167
	v_add_f16_e32 v13, v29, v13
	s_delay_alu instid0(VALU_DEP_4) | instskip(NEXT) | instid1(VALU_DEP_4)
	v_fmamk_f16 v38, v127, 0xb8d2, v36
	v_sub_f16_e64 v111, v149, v111
	s_delay_alu instid0(VALU_DEP_4)
	v_add_f16_e32 v103, v104, v103
	v_mul_f16_e32 v104, 0x3b76, v127
	v_fma_f16 v23, v127, 0xb8d2, -v36
	v_add_f16_e32 v34, v38, v34
	v_add_f16_e32 v38, v108, v31
	v_mul_f16_e64 v31, 0xbacd, v133
	v_mul_f16_e32 v108, 0xb964, v106
	v_add_f16_e64 v104, v104, v170
	v_mul_f16_e64 v170, 0x3b29, v138
	v_add_f16_e32 v38, v97, v38
	v_fma_f16 v98, 0x3836, v131, v31
	v_sub_f16_e64 v108, v147, v108
	v_add_f16_e32 v103, v104, v103
	v_mul_f16_e64 v104, 0x2de8, v130
	v_add_f16_e32 v38, v102, v38
	v_add_f16_e32 v98, v98, v37
	v_mul_f16_e64 v37, 0xb836, v143
	v_mul_f16_e32 v102, 0xba62, v110
	v_add_f16_e64 v104, v104, v173
	v_add_f16_e32 v94, v94, v38
	v_mul_f16_e64 v38, 0xb1e1, v144
	v_fma_f16 v97, 0xbacd, v130, v37
	v_sub_f16_e64 v102, v157, v102
	v_add_f16_e32 v103, v104, v103
	v_add_f16_e32 v46, v46, v94
	v_fma_f16 v157, v107, 0xbbdd, -v156
	v_add_f16_e32 v97, v97, v34
	v_mul_f16_e64 v34, 0xbbdd, v136
	v_fmac_f16_e64 v156, 0xbbdd, v107
	v_pack_b32_f16 v46, v177, v46
	v_fmac_f16_e64 v31, 0xb836, v131
	v_add_f16_e32 v14, v23, v14
	v_fma_f16 v99, 0x31e1, v137, v34
	v_fma_f16 v23, v130, 0xbacd, -v37
	v_fmac_f16_e64 v34, 0xb1e1, v137
	v_add_f16_e32 v13, v31, v13
	s_delay_alu instid0(VALU_DEP_4) | instskip(SKIP_4) | instid1(VALU_DEP_4)
	v_add_f16_e32 v98, v99, v98
	v_fma_f16 v99, 0xbbdd, v134, v38
	v_add_f16_e32 v14, v23, v14
	v_fma_f16 v23, v134, 0xbbdd, -v38
	v_add_f16_e32 v13, v34, v13
	v_add_f16_e32 v97, v99, v97
	v_mul_f16_e32 v99, 0xbb29, v106
	s_delay_alu instid0(VALU_DEP_4) | instskip(NEXT) | instid1(VALU_DEP_3)
	v_add_f16_e32 v14, v23, v14
	v_pack_b32_f16 v97, v97, v98
	s_delay_alu instid0(VALU_DEP_3) | instskip(NEXT) | instid1(VALU_DEP_3)
	v_sub_f16_e64 v99, v153, v99
	v_pack_b32_f16 v13, v14, v13
	s_delay_alu instid0(VALU_DEP_2) | instskip(NEXT) | instid1(VALU_DEP_1)
	v_add_f16_e32 v99, v96, v99
	v_add_f16_e32 v99, v102, v99
	v_mul_f16_e32 v102, 0x31e1, v118
	s_delay_alu instid0(VALU_DEP_1) | instskip(NEXT) | instid1(VALU_DEP_1)
	v_sub_f16_e64 v102, v161, v102
	v_add_f16_e32 v99, v102, v99
	v_mul_f16_e32 v102, 0x3bb2, v122
	s_delay_alu instid0(VALU_DEP_1) | instskip(NEXT) | instid1(VALU_DEP_1)
	v_sub_f16_e64 v102, v166, v102
	v_add_f16_e32 v99, v102, v99
	v_mul_f16_e32 v102, 0x3964, v125
	s_delay_alu instid0(VALU_DEP_1) | instskip(SKIP_2) | instid1(VALU_DEP_3)
	v_sub_f16_e64 v102, v171, v102
	v_fma_f16 v171, v107, 0x3722, -v170
	v_fmac_f16_e64 v170, 0x3722, v107
	v_add_f16_e32 v99, v102, v99
	v_mul_f16_e64 v102, 0xb5c8, v128
	s_delay_alu instid0(VALU_DEP_1) | instskip(NEXT) | instid1(VALU_DEP_1)
	v_sub_f16_e64 v102, v175, v102
	v_add_f16_e32 v99, v102, v99
	v_mul_f16_e64 v102, 0xbbf7, v131
	s_delay_alu instid0(VALU_DEP_1) | instskip(NEXT) | instid1(VALU_DEP_1)
	v_sub_f16_e64 v102, v176, v102
	v_add_f16_e32 v99, v102, v99
	v_add_f16_e32 v102, v96, v108
	v_mul_f16_e32 v108, 0xba62, v118
	s_delay_alu instid0(VALU_DEP_3) | instskip(NEXT) | instid1(VALU_DEP_3)
	v_add_f16_e32 v94, v113, v99
	v_add_f16_e32 v102, v111, v102
	s_delay_alu instid0(VALU_DEP_3) | instskip(SKIP_1) | instid1(VALU_DEP_2)
	v_sub_f16_e64 v108, v151, v108
	v_mul_f16_e32 v111, 0x39e9, v105
	v_add_f16_e32 v102, v108, v102
	v_mul_f16_e32 v108, 0xb1e1, v122
	s_delay_alu instid0(VALU_DEP_3) | instskip(SKIP_1) | instid1(VALU_DEP_3)
	v_add_f16_e64 v111, v111, v145
	v_fma_f16 v145, v114, 0xbbdd, -v121
	v_sub_f16_e64 v108, v155, v108
	s_delay_alu instid0(VALU_DEP_3) | instskip(NEXT) | instid1(VALU_DEP_2)
	v_add_f16_e32 v111, v95, v111
	v_add_f16_e32 v102, v108, v102
	v_mul_f16_e32 v108, 0x3836, v125
	s_delay_alu instid0(VALU_DEP_3) | instskip(SKIP_1) | instid1(VALU_DEP_3)
	v_add_f16_e32 v111, v112, v111
	v_mul_f16_e32 v112, 0xb8d2, v115
	v_sub_f16_e64 v108, v159, v108
	s_delay_alu instid0(VALU_DEP_2) | instskip(NEXT) | instid1(VALU_DEP_2)
	v_add_f16_e64 v112, v112, v148
	v_add_f16_e32 v102, v108, v102
	v_mul_f16_e64 v108, 0x3bb2, v128
	s_delay_alu instid0(VALU_DEP_3) | instskip(SKIP_1) | instid1(VALU_DEP_3)
	v_add_f16_e32 v111, v112, v111
	v_mul_f16_e32 v112, 0xbbdd, v119
	v_sub_f16_e64 v108, v162, v108
	s_delay_alu instid0(VALU_DEP_2) | instskip(NEXT) | instid1(VALU_DEP_2)
	v_add_f16_e64 v112, v112, v150
	v_add_f16_e32 v102, v108, v102
	v_mul_f16_e32 v108, 0xbacd, v124
	s_delay_alu instid0(VALU_DEP_3) | instskip(SKIP_2) | instid1(VALU_DEP_4)
	v_add_f16_e32 v104, v112, v111
	v_mul_f16_e64 v111, 0x3b29, v131
	v_mul_f16_e64 v112, 0xbacd, v134
	v_add_f16_e64 v108, v108, v154
	s_delay_alu instid0(VALU_DEP_3) | instskip(NEXT) | instid1(VALU_DEP_3)
	v_sub_f16_e64 v111, v165, v111
	v_add_f16_e64 v112, v112, v172
	s_delay_alu instid0(VALU_DEP_3) | instskip(SKIP_1) | instid1(VALU_DEP_4)
	v_add_f16_e32 v104, v108, v104
	v_mul_f16_e32 v108, 0xb461, v127
	v_add_f16_e32 v102, v111, v102
	v_mul_f16_e64 v111, 0x35c8, v137
	v_add_f16_e32 v99, v112, v103
	s_delay_alu instid0(VALU_DEP_4) | instskip(NEXT) | instid1(VALU_DEP_3)
	v_add_f16_e64 v108, v108, v158
	v_sub_f16_e64 v111, v169, v111
	s_delay_alu instid0(VALU_DEP_3) | instskip(SKIP_1) | instid1(VALU_DEP_4)
	v_pack_b32_f16 v94, v99, v94
	v_mul_f16_e32 v99, 0x3836, v110
	v_add_f16_e32 v104, v108, v104
	v_mul_f16_e64 v108, 0x3722, v130
	v_add_f16_e32 v102, v111, v102
	v_mul_f16_e64 v111, 0x3836, v138
	v_mul_f16_e64 v138, 0x35c8, v138
	s_delay_alu instid0(VALU_DEP_4) | instskip(NEXT) | instid1(VALU_DEP_3)
	v_add_f16_e64 v108, v108, v163
	v_fma_f16 v112, v107, 0xbacd, -v111
	v_fmac_f16_e32 v111, 0xbacd, v107
	s_delay_alu instid0(VALU_DEP_4) | instskip(NEXT) | instid1(VALU_DEP_4)
	v_fma_f16 v203, v107, 0x3b76, -v138
	v_add_f16_e32 v104, v108, v104
	v_mul_f16_e64 v108, 0x3b76, v134
	v_fmac_f16_e64 v138, 0x3b76, v107
	s_delay_alu instid0(VALU_DEP_2) | instskip(NEXT) | instid1(VALU_DEP_1)
	v_add_f16_e64 v108, v108, v168
	v_add_f16_e32 v103, v108, v104
	s_delay_alu instid0(VALU_DEP_1)
	v_pack_b32_f16 v98, v103, v102
	ds_store_2addr_b32 v45, v46, v97 offset1:1
	v_mul_f16_e32 v46, 0xbbb2, v106
	v_fma_f16 v102, v114, 0xbacd, -v99
	v_fmamk_f16 v99, v114, 0xbacd, v99
	ds_store_2addr_b32 v45, v98, v94 offset0:2 offset1:3
	v_mul_f16_e32 v94, 0xb836, v106
	v_fma_f16 v97, v109, 0xb461, -v46
	v_fmamk_f16 v46, v109, 0xb461, v46
	s_delay_alu instid0(VALU_DEP_3) | instskip(NEXT) | instid1(VALU_DEP_3)
	v_fma_f16 v98, v109, 0xbacd, -v94
	v_add_f16_e32 v97, v96, v97
	s_delay_alu instid0(VALU_DEP_3) | instskip(SKIP_1) | instid1(VALU_DEP_4)
	v_add_f16_e32 v46, v96, v46
	v_fmamk_f16 v94, v109, 0xbacd, v94
	v_add_f16_e32 v98, v96, v98
	s_delay_alu instid0(VALU_DEP_4) | instskip(SKIP_3) | instid1(VALU_DEP_3)
	v_add_f16_e32 v97, v102, v97
	v_mul_f16_e32 v102, 0x3964, v118
	v_add_f16_e32 v46, v99, v46
	v_add_f16_e32 v94, v96, v94
	v_fma_f16 v103, v123, 0x39e9, -v102
	v_fmamk_f16 v102, v123, 0x39e9, v102
	s_delay_alu instid0(VALU_DEP_2) | instskip(SKIP_1) | instid1(VALU_DEP_3)
	v_add_f16_e32 v97, v103, v97
	v_mul_f16_e32 v103, 0xbb29, v122
	v_add_f16_e32 v46, v102, v46
	s_delay_alu instid0(VALU_DEP_2) | instskip(SKIP_1) | instid1(VALU_DEP_2)
	v_fma_f16 v104, v126, 0x3722, -v103
	v_fmamk_f16 v102, v126, 0x3722, v103
	v_add_f16_e32 v97, v104, v97
	v_mul_f16_e64 v104, 0xbbb2, v135
	s_delay_alu instid0(VALU_DEP_3) | instskip(NEXT) | instid1(VALU_DEP_2)
	v_add_f16_e32 v46, v102, v46
	v_fma_f16 v108, v105, 0xb461, -v104
	v_fmac_f16_e32 v104, 0xb461, v105
	s_delay_alu instid0(VALU_DEP_2) | instskip(NEXT) | instid1(VALU_DEP_2)
	v_add_f16_e32 v103, v95, v108
	v_add_f16_e32 v104, v95, v104
	v_fma_f16 v108, 0xb461, v114, v181
	s_delay_alu instid0(VALU_DEP_3) | instskip(NEXT) | instid1(VALU_DEP_3)
	v_add_f16_e32 v103, v112, v103
	v_add_f16_e32 v104, v111, v104
	v_mul_f16_e32 v111, 0xb1e1, v125
	s_delay_alu instid0(VALU_DEP_1) | instskip(SKIP_1) | instid1(VALU_DEP_2)
	v_fma_f16 v113, v129, 0xbbdd, -v111
	v_fma_f16 v102, 0xbbdd, v129, v111
	v_add_f16_e32 v97, v113, v97
	v_mul_f16_e64 v113, 0x3964, v139
	s_delay_alu instid0(VALU_DEP_3) | instskip(NEXT) | instid1(VALU_DEP_2)
	v_add_f16_e32 v46, v102, v46
	v_fma_f16 v116, v115, 0x39e9, -v113
	v_fmac_f16_e32 v113, 0x39e9, v115
	s_delay_alu instid0(VALU_DEP_2) | instskip(NEXT) | instid1(VALU_DEP_2)
	v_add_f16_e32 v103, v116, v103
	v_add_f16_e32 v104, v113, v104
	v_mul_f16_e64 v113, 0x3bf7, v128
	s_delay_alu instid0(VALU_DEP_1) | instskip(SKIP_1) | instid1(VALU_DEP_2)
	v_fma_f16 v117, v132, 0x2de8, -v113
	v_fma_f16 v102, 0x2de8, v132, v113
	v_add_f16_e32 v97, v117, v97
	v_mul_f16_e32 v117, 0xbbf7, v106
	s_delay_alu instid0(VALU_DEP_3) | instskip(NEXT) | instid1(VALU_DEP_2)
	v_add_f16_e32 v46, v102, v46
	v_fma_f16 v120, v109, 0x2de8, -v117
	s_delay_alu instid0(VALU_DEP_1) | instskip(NEXT) | instid1(VALU_DEP_1)
	v_add_f16_e32 v120, v96, v120
	v_add_f16_e64 v120, v145, v120
	v_mul_f16_e64 v145, 0xbb29, v140
	s_delay_alu instid0(VALU_DEP_1) | instskip(SKIP_1) | instid1(VALU_DEP_2)
	v_fma_f16 v146, v119, 0x3722, -v145
	v_fmac_f16_e64 v145, 0x3722, v119
	v_add_f16_e64 v103, v146, v103
	s_delay_alu instid0(VALU_DEP_2) | instskip(SKIP_1) | instid1(VALU_DEP_1)
	v_add_f16_e64 v104, v145, v104
	v_mul_f16_e64 v145, 0xb5c8, v131
	v_fma_f16 v147, v133, 0x3b76, -v145
	s_delay_alu instid0(VALU_DEP_1) | instskip(SKIP_1) | instid1(VALU_DEP_1)
	v_add_f16_e64 v97, v147, v97
	v_mul_f16_e64 v147, 0x3bb2, v118
	v_fma_f16 v148, v123, 0xb461, -v147
	s_delay_alu instid0(VALU_DEP_1) | instskip(SKIP_1) | instid1(VALU_DEP_1)
	v_add_f16_e64 v120, v148, v120
	v_mul_f16_e64 v148, 0xb1e1, v141
	v_fma_f16 v149, v124, 0xbbdd, -v148
	v_fmac_f16_e64 v148, 0xbbdd, v124
	s_delay_alu instid0(VALU_DEP_2) | instskip(NEXT) | instid1(VALU_DEP_2)
	v_add_f16_e64 v103, v149, v103
	v_add_f16_e64 v104, v148, v104
	v_mul_f16_e64 v148, 0xba62, v137
	s_delay_alu instid0(VALU_DEP_1) | instskip(NEXT) | instid1(VALU_DEP_1)
	v_fma_f16 v150, v136, 0xb8d2, -v148
	v_add_f16_e64 v97, v150, v97
	v_mul_f16_e64 v150, 0x35c8, v122
	s_delay_alu instid0(VALU_DEP_1) | instskip(NEXT) | instid1(VALU_DEP_1)
	v_fma_f16 v151, v126, 0x3b76, -v150
	v_add_f16_e64 v120, v151, v120
	v_mul_f16_e64 v151, 0x3bf7, v142
	s_delay_alu instid0(VALU_DEP_1) | instskip(SKIP_1) | instid1(VALU_DEP_2)
	v_fma_f16 v152, v127, 0x2de8, -v151
	v_fmac_f16_e64 v151, 0x2de8, v127
	v_add_f16_e64 v103, v152, v103
	s_delay_alu instid0(VALU_DEP_2) | instskip(SKIP_1) | instid1(VALU_DEP_1)
	v_add_f16_e64 v104, v151, v104
	v_mul_f16_e64 v151, 0xbb29, v125
	v_fma_f16 v153, v129, 0x3722, -v151
	s_delay_alu instid0(VALU_DEP_1) | instskip(SKIP_1) | instid1(VALU_DEP_1)
	v_add_f16_e64 v120, v153, v120
	v_mul_f16_e64 v153, 0xb5c8, v143
	v_fma_f16 v154, v130, 0x3b76, -v153
	v_fmac_f16_e64 v153, 0x3b76, v130
	s_delay_alu instid0(VALU_DEP_2) | instskip(NEXT) | instid1(VALU_DEP_2)
	v_add_f16_e64 v103, v154, v103
	v_add_f16_e64 v104, v153, v104
	v_mul_f16_e64 v153, 0xbbf7, v135
	s_delay_alu instid0(VALU_DEP_1) | instskip(SKIP_1) | instid1(VALU_DEP_1)
	v_fma_f16 v155, v105, 0x2de8, -v153
	v_fmac_f16_e64 v153, 0x2de8, v105
	v_add_f16_e64 v153, v95, v153
	s_delay_alu instid0(VALU_DEP_1) | instskip(SKIP_1) | instid1(VALU_DEP_1)
	v_add_f16_e64 v153, v156, v153
	v_mul_f16_e64 v156, 0xb836, v128
	v_fma_f16 v158, v132, 0xbacd, -v156
	s_delay_alu instid0(VALU_DEP_1) | instskip(SKIP_1) | instid1(VALU_DEP_1)
	v_add_f16_e64 v120, v158, v120
	v_mul_f16_e64 v158, 0xba62, v144
	v_fma_f16 v159, v134, 0xb8d2, -v158
	v_fmac_f16_e64 v158, 0xb8d2, v134
	s_delay_alu instid0(VALU_DEP_1) | instskip(SKIP_1) | instid1(VALU_DEP_2)
	v_add_f16_e64 v104, v158, v104
	v_mul_f16_e64 v158, 0x3bb2, v139
	v_pack_b32_f16 v97, v104, v97
	s_delay_alu instid0(VALU_DEP_2) | instskip(SKIP_1) | instid1(VALU_DEP_1)
	v_fma_f16 v160, v115, 0xb461, -v158
	v_fmac_f16_e64 v158, 0xb461, v115
	v_add_f16_e64 v153, v158, v153
	v_mul_f16_e64 v158, 0x3a62, v131
	s_delay_alu instid0(VALU_DEP_1) | instskip(NEXT) | instid1(VALU_DEP_1)
	v_fma_f16 v161, v133, 0xb8d2, -v158
	v_add_f16_e64 v120, v161, v120
	v_mul_f16_e64 v161, 0x35c8, v140
	s_delay_alu instid0(VALU_DEP_1) | instskip(SKIP_1) | instid1(VALU_DEP_1)
	v_fma_f16 v162, v119, 0x3b76, -v161
	v_fmac_f16_e64 v161, 0x3b76, v119
	v_add_f16_e64 v153, v161, v153
	v_mul_f16_e64 v161, 0x3964, v137
	s_delay_alu instid0(VALU_DEP_1) | instskip(SKIP_1) | instid1(VALU_DEP_2)
	v_fma_f16 v163, v136, 0x39e9, -v161
	v_fma_f16 v102, 0x39e9, v136, v161
	v_add_f16_e64 v120, v163, v120
	v_mul_f16_e64 v163, 0xbb29, v141
	s_delay_alu instid0(VALU_DEP_1) | instskip(SKIP_1) | instid1(VALU_DEP_1)
	v_fma_f16 v164, v124, 0x3722, -v163
	v_fmac_f16_e64 v163, 0x3722, v124
	v_add_f16_e64 v153, v163, v153
	v_mul_f16_e64 v163, 0xb836, v142
	s_delay_alu instid0(VALU_DEP_1) | instskip(SKIP_1) | instid1(VALU_DEP_1)
	v_fma_f16 v165, v127, 0xbacd, -v163
	v_fmac_f16_e64 v163, 0xbacd, v127
	;; [unrolled: 5-line block ×4, first 2 shown]
	v_add_f16_e64 v153, v163, v153
	s_delay_alu instid0(VALU_DEP_1) | instskip(SKIP_1) | instid1(VALU_DEP_1)
	v_pack_b32_f16 v104, v153, v120
	v_mul_f16_e32 v120, 0x3b29, v110
	v_fma_f16 v153, v114, 0x3722, -v120
	s_delay_alu instid0(VALU_DEP_1) | instskip(SKIP_1) | instid1(VALU_DEP_1)
	v_add_f16_e64 v98, v153, v98
	v_mul_f16_e64 v153, 0xbbf7, v118
	v_fma_f16 v163, v123, 0x2de8, -v153
	s_delay_alu instid0(VALU_DEP_1) | instskip(SKIP_1) | instid1(VALU_DEP_1)
	v_add_f16_e64 v98, v163, v98
	v_mul_f16_e64 v163, 0x3a62, v122
	;; [unrolled: 4-line block ×3, first 2 shown]
	v_fma_f16 v169, v105, 0xbacd, -v168
	v_fmac_f16_e64 v168, 0xbacd, v105
	s_delay_alu instid0(VALU_DEP_1) | instskip(NEXT) | instid1(VALU_DEP_1)
	v_add_f16_e64 v168, v95, v168
	v_add_f16_e64 v168, v170, v168
	v_mul_f16_e64 v170, 0xb5c8, v125
	s_delay_alu instid0(VALU_DEP_1) | instskip(NEXT) | instid1(VALU_DEP_1)
	v_fma_f16 v172, v129, 0x3b76, -v170
	v_add_f16_e64 v98, v172, v98
	v_mul_f16_e64 v172, 0xbbf7, v139
	s_delay_alu instid0(VALU_DEP_1) | instskip(SKIP_1) | instid1(VALU_DEP_1)
	v_fma_f16 v173, v115, 0x2de8, -v172
	v_fmac_f16_e64 v172, 0x2de8, v115
	v_add_f16_e64 v168, v172, v168
	v_mul_f16_e64 v172, 0xb1e1, v128
	s_delay_alu instid0(VALU_DEP_1) | instskip(NEXT) | instid1(VALU_DEP_1)
	v_fma_f16 v174, v132, 0xbbdd, -v172
	v_add_f16_e64 v98, v174, v98
	v_mul_f16_e64 v174, 0x3a62, v140
	s_delay_alu instid0(VALU_DEP_1) | instskip(SKIP_1) | instid1(VALU_DEP_1)
	v_fma_f16 v175, v119, 0xb8d2, -v174
	v_fmac_f16_e64 v174, 0xb8d2, v119
	v_add_f16_e64 v168, v174, v168
	v_mul_f16_e64 v174, 0x3964, v131
	s_delay_alu instid0(VALU_DEP_1) | instskip(SKIP_1) | instid1(VALU_DEP_2)
	v_fma_f16 v176, v133, 0x39e9, -v174
	v_fma_f16 v26, 0x39e9, v133, v174
	v_add_f16_e64 v98, v176, v98
	v_mul_f16_e64 v176, 0xb5c8, v141
	s_delay_alu instid0(VALU_DEP_1) | instskip(SKIP_1) | instid1(VALU_DEP_1)
	v_fma_f16 v177, v124, 0x3b76, -v176
	v_fmac_f16_e64 v176, 0x3b76, v124
	v_add_f16_e64 v168, v176, v168
	v_mul_f16_e64 v176, 0xbbb2, v137
	s_delay_alu instid0(VALU_DEP_1) | instskip(SKIP_1) | instid1(VALU_DEP_2)
	v_fma_f16 v178, v136, 0xb461, -v176
	v_fma_f16 v29, 0xb461, v136, v176
	v_add_f16_e64 v98, v178, v98
	v_mul_f16_e64 v178, 0xb1e1, v142
	s_delay_alu instid0(VALU_DEP_1) | instskip(SKIP_1) | instid1(VALU_DEP_1)
	v_fma_f16 v179, v127, 0xbbdd, -v178
	v_fmac_f16_e64 v178, 0xbbdd, v127
	v_add_f16_e64 v168, v178, v168
	v_mul_f16_e64 v178, 0xba62, v106
	s_delay_alu instid0(VALU_DEP_1) | instskip(NEXT) | instid1(VALU_DEP_1)
	v_fma_f16 v180, v109, 0xb8d2, -v178
	v_add_f16_e64 v180, v96, v180
	s_delay_alu instid0(VALU_DEP_1) | instskip(SKIP_1) | instid1(VALU_DEP_1)
	v_add_f16_e64 v180, v182, v180
	v_mul_f16_e64 v182, 0x3964, v143
	v_fma_f16 v183, v130, 0x39e9, -v182
	v_fmac_f16_e64 v182, 0x39e9, v130
	s_delay_alu instid0(VALU_DEP_1) | instskip(SKIP_1) | instid1(VALU_DEP_1)
	v_add_f16_e64 v168, v182, v168
	v_mul_f16_e64 v182, 0xb5c8, v118
	v_fma_f16 v184, v123, 0x3b76, -v182
	s_delay_alu instid0(VALU_DEP_1) | instskip(SKIP_1) | instid1(VALU_DEP_1)
	v_add_f16_e64 v180, v184, v180
	v_mul_f16_e64 v184, 0xbbb2, v144
	v_fma_f16 v185, v134, 0xb461, -v184
	v_fmac_f16_e64 v184, 0xb461, v134
	s_delay_alu instid0(VALU_DEP_1) | instskip(SKIP_1) | instid1(VALU_DEP_2)
	v_add_f16_e64 v168, v184, v168
	v_mul_f16_e64 v184, 0xb836, v122
	v_pack_b32_f16 v98, v168, v98
	s_delay_alu instid0(VALU_DEP_2) | instskip(NEXT) | instid1(VALU_DEP_1)
	v_fma_f16 v186, v126, 0xbacd, -v184
	v_add_f16_e64 v180, v186, v180
	v_mul_f16_e64 v186, 0xba62, v135
	v_mul_f16_e64 v135, 0xb1e1, v135
	s_delay_alu instid0(VALU_DEP_2) | instskip(SKIP_1) | instid1(VALU_DEP_1)
	v_fma_f16 v187, v105, 0xb8d2, -v186
	v_fmac_f16_e64 v186, 0xb8d2, v105
	v_add_f16_e64 v186, v95, v186
	s_delay_alu instid0(VALU_DEP_1) | instskip(SKIP_1) | instid1(VALU_DEP_1)
	v_add_f16_e64 v186, v188, v186
	v_mul_f16_e64 v188, 0x3bf7, v125
	v_fma_f16 v190, v129, 0x2de8, -v188
	s_delay_alu instid0(VALU_DEP_1) | instskip(SKIP_2) | instid1(VALU_DEP_2)
	v_add_f16_e64 v180, v190, v180
	v_mul_f16_e64 v190, 0xb5c8, v139
	v_mul_f16_e64 v139, 0xb836, v139
	v_fma_f16 v191, v115, 0x3b76, -v190
	v_fmac_f16_e64 v190, 0x3b76, v115
	s_delay_alu instid0(VALU_DEP_1) | instskip(SKIP_1) | instid1(VALU_DEP_1)
	v_add_f16_e64 v186, v190, v186
	v_mul_f16_e64 v190, 0xb964, v128
	v_fma_f16 v192, v132, 0x39e9, -v190
	v_fma_f16 v111, 0x39e9, v132, v190
	s_delay_alu instid0(VALU_DEP_2) | instskip(SKIP_2) | instid1(VALU_DEP_2)
	v_add_f16_e64 v180, v192, v180
	v_mul_f16_e64 v192, 0xb836, v140
	v_mul_f16_e64 v140, 0x3964, v140
	v_fma_f16 v193, v119, 0xbacd, -v192
	v_fmac_f16_e64 v192, 0xbacd, v119
	s_delay_alu instid0(VALU_DEP_1) | instskip(SKIP_1) | instid1(VALU_DEP_1)
	v_add_f16_e64 v186, v192, v186
	v_mul_f16_e64 v192, 0xb1e1, v131
	v_fma_f16 v194, v133, 0xbbdd, -v192
	s_delay_alu instid0(VALU_DEP_1) | instskip(SKIP_2) | instid1(VALU_DEP_2)
	v_add_f16_e64 v180, v194, v180
	v_mul_f16_e64 v194, 0x3bf7, v141
	v_mul_f16_e64 v141, 0xba62, v141
	v_fma_f16 v195, v124, 0x2de8, -v194
	v_fmac_f16_e64 v194, 0x2de8, v124
	s_delay_alu instid0(VALU_DEP_1) | instskip(SKIP_2) | instid1(VALU_DEP_2)
	v_add_f16_e64 v186, v194, v186
	v_mul_f16_e64 v194, 0xb964, v142
	v_mul_f16_e64 v142, 0x3b29, v142
	v_fma_f16 v196, v127, 0x39e9, -v194
	v_fmac_f16_e64 v194, 0x39e9, v127
	s_delay_alu instid0(VALU_DEP_1) | instskip(SKIP_1) | instid1(VALU_DEP_1)
	v_add_f16_e64 v186, v194, v186
	v_mul_f16_e64 v194, 0x3b29, v137
	v_fma_f16 v197, v136, 0x3722, -v194
	s_delay_alu instid0(VALU_DEP_1) | instskip(SKIP_2) | instid1(VALU_DEP_2)
	v_add_f16_e64 v180, v197, v180
	v_mul_f16_e64 v197, 0xb1e1, v143
	v_mul_f16_e64 v143, 0xbbb2, v143
	v_fma_f16 v198, v130, 0xbbdd, -v197
	v_fmac_f16_e64 v197, 0xbbdd, v130
	s_delay_alu instid0(VALU_DEP_1) | instskip(SKIP_2) | instid1(VALU_DEP_2)
	v_add_f16_e64 v186, v197, v186
	v_mul_f16_e64 v197, 0x3b29, v144
	v_mul_f16_e64 v144, 0x3bf7, v144
	v_fma_f16 v199, v134, 0x3722, -v197
	v_fmac_f16_e64 v197, 0x3722, v134
	s_delay_alu instid0(VALU_DEP_1) | instskip(NEXT) | instid1(VALU_DEP_1)
	v_add_f16_e64 v186, v197, v186
	v_pack_b32_f16 v168, v186, v180
	ds_store_2addr_b32 v45, v104, v97 offset0:4 offset1:5
	ds_store_2addr_b32 v45, v168, v98 offset0:6 offset1:7
	v_mul_f16_e32 v97, 0xb1e1, v106
	v_mul_f16_e32 v104, 0x35c8, v110
	v_fma_f16 v106, 0xbbdd, v132, v172
	s_delay_alu instid0(VALU_DEP_3) | instskip(NEXT) | instid1(VALU_DEP_3)
	v_fmamk_f16 v98, v109, 0xbbdd, v97
	v_fma_f16 v168, 0x3b76, v114, v104
	v_fma_f16 v97, v109, 0xbbdd, -v97
	v_fma_f16 v104, v114, 0x3b76, -v104
	s_delay_alu instid0(VALU_DEP_4) | instskip(NEXT) | instid1(VALU_DEP_3)
	v_add_f16_e32 v98, v96, v98
	v_add_f16_e32 v97, v96, v97
	s_delay_alu instid0(VALU_DEP_2) | instskip(SKIP_1) | instid1(VALU_DEP_3)
	v_add_f16_e64 v98, v168, v98
	v_mul_f16_e64 v168, 0xb836, v118
	v_add_f16_e32 v97, v104, v97
	s_delay_alu instid0(VALU_DEP_2) | instskip(SKIP_1) | instid1(VALU_DEP_2)
	v_fma_f16 v180, 0xbacd, v123, v168
	v_fma_f16 v104, v123, 0xbacd, -v168
	v_add_f16_e64 v98, v180, v98
	v_mul_f16_e64 v180, 0x3964, v122
	s_delay_alu instid0(VALU_DEP_3) | instskip(NEXT) | instid1(VALU_DEP_2)
	v_add_f16_e32 v97, v104, v97
	v_fma_f16 v186, 0x39e9, v126, v180
	v_fma_f16 v104, v126, 0x39e9, -v180
	s_delay_alu instid0(VALU_DEP_2) | instskip(SKIP_1) | instid1(VALU_DEP_3)
	v_add_f16_e64 v98, v186, v98
	v_mul_f16_e64 v186, 0xba62, v125
	v_add_f16_e32 v97, v104, v97
	s_delay_alu instid0(VALU_DEP_2) | instskip(SKIP_1) | instid1(VALU_DEP_2)
	v_fma_f16 v197, 0xb8d2, v129, v186
	v_fma_f16 v104, v129, 0xb8d2, -v186
	v_add_f16_e64 v98, v197, v98
	v_mul_f16_e64 v197, 0x3b29, v128
	s_delay_alu instid0(VALU_DEP_3) | instskip(NEXT) | instid1(VALU_DEP_2)
	v_add_f16_e32 v97, v104, v97
	v_fma_f16 v200, 0x3722, v132, v197
	s_delay_alu instid0(VALU_DEP_1) | instskip(SKIP_1) | instid1(VALU_DEP_1)
	v_add_f16_e64 v98, v200, v98
	v_mul_f16_e64 v200, 0xbbb2, v131
	v_fma_f16 v201, 0xb461, v133, v200
	s_delay_alu instid0(VALU_DEP_1) | instskip(SKIP_1) | instid1(VALU_DEP_1)
	v_add_f16_e64 v98, v201, v98
	v_mul_f16_e64 v201, 0x3bf7, v137
	v_fma_f16 v202, 0x2de8, v136, v201
	s_delay_alu instid0(VALU_DEP_1) | instskip(SKIP_2) | instid1(VALU_DEP_2)
	v_add_f16_e64 v98, v202, v98
	v_fma_f16 v202, v105, 0xbbdd, -v135
	v_fmac_f16_e64 v135, 0xbbdd, v105
	v_add_f16_e64 v202, v95, v202
	s_delay_alu instid0(VALU_DEP_2) | instskip(SKIP_1) | instid1(VALU_DEP_3)
	v_add_f16_e64 v104, v95, v135
	v_fma_f16 v135, v132, 0x3722, -v197
	v_add_f16_e64 v202, v203, v202
	v_fma_f16 v203, v115, 0xbacd, -v139
	s_delay_alu instid0(VALU_DEP_4)
	v_add_f16_e64 v104, v138, v104
	v_fmac_f16_e64 v139, 0xbacd, v115
	v_add_f16_e64 v97, v135, v97
	v_fma_f16 v135, v133, 0xb461, -v200
	v_add_f16_e64 v202, v203, v202
	v_fma_f16 v203, v119, 0x39e9, -v140
	v_add_f16_e64 v104, v139, v104
	v_fmac_f16_e64 v140, 0x39e9, v119
	v_add_f16_e64 v97, v135, v97
	v_fma_f16 v135, v136, 0x2de8, -v201
	v_add_f16_e64 v202, v203, v202
	v_fma_f16 v203, v124, 0xb8d2, -v141
	v_add_f16_e64 v104, v140, v104
	v_fmac_f16_e64 v141, 0xb8d2, v124
	v_add_f16_e64 v97, v135, v97
	s_delay_alu instid0(VALU_DEP_4) | instskip(SKIP_1) | instid1(VALU_DEP_4)
	v_add_f16_e64 v202, v203, v202
	v_fma_f16 v203, v127, 0x3722, -v142
	v_add_f16_e64 v104, v141, v104
	v_fmac_f16_e64 v142, 0x3722, v127
	s_delay_alu instid0(VALU_DEP_3) | instskip(SKIP_1) | instid1(VALU_DEP_3)
	v_add_f16_e64 v202, v203, v202
	v_fma_f16 v203, v130, 0xb461, -v143
	v_add_f16_e64 v104, v142, v104
	v_fmac_f16_e64 v143, 0xb461, v130
	s_delay_alu instid0(VALU_DEP_3) | instskip(SKIP_1) | instid1(VALU_DEP_3)
	v_add_f16_e64 v202, v203, v202
	v_fma_f16 v203, v134, 0x2de8, -v144
	v_add_f16_e64 v104, v143, v104
	v_fmac_f16_e64 v144, 0x2de8, v134
	s_delay_alu instid0(VALU_DEP_3) | instskip(NEXT) | instid1(VALU_DEP_2)
	v_add_f16_e64 v202, v203, v202
	v_add_f16_e64 v104, v144, v104
	s_delay_alu instid0(VALU_DEP_2) | instskip(NEXT) | instid1(VALU_DEP_2)
	v_pack_b32_f16 v98, v202, v98
	v_pack_b32_f16 v97, v104, v97
	v_fmamk_f16 v104, v109, 0x2de8, v117
	v_fmamk_f16 v117, v114, 0xbbdd, v121
	v_fma_f16 v121, 0xbacd, v132, v156
	s_delay_alu instid0(VALU_DEP_3) | instskip(NEXT) | instid1(VALU_DEP_1)
	v_add_f16_e32 v104, v96, v104
	v_add_f16_e32 v104, v117, v104
	v_fma_f16 v117, 0xb461, v123, v147
	s_delay_alu instid0(VALU_DEP_1) | instskip(SKIP_1) | instid1(VALU_DEP_1)
	v_add_f16_e32 v104, v117, v104
	v_fma_f16 v117, 0x3b76, v126, v150
	v_add_f16_e32 v104, v117, v104
	v_fma_f16 v117, 0x3722, v129, v151
	s_delay_alu instid0(VALU_DEP_1) | instskip(SKIP_1) | instid1(VALU_DEP_2)
	v_add_f16_e32 v104, v117, v104
	v_add_f16_e64 v117, v95, v155
	v_add_f16_e32 v104, v121, v104
	v_fma_f16 v121, 0xb8d2, v133, v158
	s_delay_alu instid0(VALU_DEP_3) | instskip(NEXT) | instid1(VALU_DEP_2)
	v_add_f16_e64 v117, v157, v117
	v_add_f16_e32 v104, v121, v104
	s_delay_alu instid0(VALU_DEP_2) | instskip(NEXT) | instid1(VALU_DEP_2)
	v_add_f16_e64 v117, v160, v117
	v_add_f16_e32 v102, v102, v104
	v_fma_f16 v104, 0x3b76, v133, v145
	s_delay_alu instid0(VALU_DEP_3) | instskip(NEXT) | instid1(VALU_DEP_2)
	v_add_f16_e64 v99, v162, v117
	v_add_f16_e32 v46, v104, v46
	v_fma_f16 v104, 0xb8d2, v109, v178
	v_fma_f16 v109, 0x2de8, v129, v188
	s_delay_alu instid0(VALU_DEP_4) | instskip(NEXT) | instid1(VALU_DEP_3)
	v_add_f16_e64 v99, v164, v99
	v_add_f16_e32 v104, v96, v104
	v_add_f16_e64 v96, v95, v169
	s_delay_alu instid0(VALU_DEP_3) | instskip(NEXT) | instid1(VALU_DEP_3)
	v_add_f16_e64 v99, v165, v99
	v_add_f16_e32 v104, v108, v104
	v_fma_f16 v108, 0x3b76, v123, v182
	s_delay_alu instid0(VALU_DEP_4) | instskip(NEXT) | instid1(VALU_DEP_4)
	v_add_f16_e64 v96, v171, v96
	v_add_f16_e64 v99, v166, v99
	s_delay_alu instid0(VALU_DEP_3) | instskip(SKIP_1) | instid1(VALU_DEP_4)
	v_add_f16_e32 v104, v108, v104
	v_fma_f16 v108, 0xbacd, v126, v184
	v_add_f16_e64 v32, v173, v96
	s_delay_alu instid0(VALU_DEP_4) | instskip(NEXT) | instid1(VALU_DEP_3)
	v_add_f16_e64 v99, v167, v99
	v_add_f16_e32 v104, v108, v104
	v_add_f16_e64 v108, v95, v187
	s_delay_alu instid0(VALU_DEP_4) | instskip(SKIP_1) | instid1(VALU_DEP_4)
	v_add_f16_e64 v32, v175, v32
	v_fma_f16 v95, 0x3722, v136, v194
	v_add_f16_e32 v104, v109, v104
	v_fmamk_f16 v109, v114, 0x3722, v120
	v_add_f16_e64 v108, v189, v108
	v_add_f16_e64 v32, v177, v32
	s_delay_alu instid0(VALU_DEP_4) | instskip(NEXT) | instid1(VALU_DEP_4)
	v_add_f16_e32 v104, v111, v104
	v_add_f16_e32 v94, v109, v94
	v_fma_f16 v109, 0x2de8, v123, v153
	v_add_f16_e64 v108, v191, v108
	v_fma_f16 v111, 0xb8d2, v136, v148
	s_delay_alu instid0(VALU_DEP_3) | instskip(SKIP_1) | instid1(VALU_DEP_4)
	v_add_f16_e32 v94, v109, v94
	v_fma_f16 v109, 0xb8d2, v126, v163
	v_add_f16_e64 v108, v193, v108
	s_delay_alu instid0(VALU_DEP_4) | instskip(SKIP_1) | instid1(VALU_DEP_4)
	v_add_f16_e32 v46, v111, v46
	v_fma_f16 v111, 0xbbdd, v133, v192
	v_add_f16_e32 v94, v109, v94
	v_fma_f16 v109, 0x3b76, v129, v170
	v_add_f16_e64 v108, v195, v108
	s_delay_alu instid0(VALU_DEP_4) | instskip(NEXT) | instid1(VALU_DEP_3)
	v_add_f16_e32 v104, v111, v104
	v_add_f16_e32 v94, v109, v94
	s_delay_alu instid0(VALU_DEP_3) | instskip(NEXT) | instid1(VALU_DEP_3)
	v_add_f16_e64 v108, v196, v108
	v_add_f16_e32 v95, v95, v104
	s_delay_alu instid0(VALU_DEP_3) | instskip(NEXT) | instid1(VALU_DEP_3)
	v_add_f16_e32 v30, v106, v94
	v_add_f16_e64 v105, v198, v108
	s_delay_alu instid0(VALU_DEP_2) | instskip(SKIP_1) | instid1(VALU_DEP_3)
	v_add_f16_e32 v25, v26, v30
	v_add_f16_e64 v26, v179, v32
	v_add_f16_e64 v24, v199, v105
	v_perm_b32 v30, v100, v27, 0x5040100
	s_delay_alu instid0(VALU_DEP_4) | instskip(NEXT) | instid1(VALU_DEP_4)
	v_add_f16_e32 v25, v29, v25
	v_add_f16_e64 v26, v183, v26
	v_add_f16_e64 v29, v159, v103
	v_pack_b32_f16 v23, v24, v95
	s_delay_alu instid0(VALU_DEP_3) | instskip(NEXT) | instid1(VALU_DEP_1)
	v_add_f16_e64 v26, v185, v26
	v_pack_b32_f16 v24, v26, v25
	v_pack_b32_f16 v25, v99, v102
	;; [unrolled: 1-line block ×3, first 2 shown]
	v_perm_b32 v29, v101, v28, 0x5040100
	ds_store_2addr_b32 v45, v97, v98 offset0:8 offset1:9
	ds_store_2addr_b32 v45, v24, v23 offset0:10 offset1:11
	;; [unrolled: 1-line block ×4, first 2 shown]
	ds_store_b32 v45, v13 offset:64
.LBB0_17:
	s_wait_alu 0xfffe
	s_or_b32 exec_lo, exec_lo, s1
	v_add_nc_u32_e32 v31, 0x400, v44
	global_wb scope:SCOPE_SE
	s_wait_dscnt 0x0
	s_barrier_signal -1
	s_barrier_wait -1
	global_inv scope:SCOPE_SE
	ds_load_2addr_b32 v[29:30], v44 offset1:34
	ds_load_2addr_b32 v[13:14], v44 offset0:204 offset1:255
	ds_load_2addr_b32 v[35:36], v31 offset0:33 offset1:67
	;; [unrolled: 1-line block ×6, first 2 shown]
	s_and_saveexec_b32 s1, s0
	s_cbranch_execz .LBB0_19
; %bb.18:
	v_add_nc_u32_e32 v27, 0x3b8, v44
	ds_load_2addr_b32 v[27:28], v27 offset1:255
	s_wait_dscnt 0x0
	v_lshrrev_b32_e32 v100, 16, v27
	v_lshrrev_b32_e32 v101, 16, v28
.LBB0_19:
	s_wait_alu 0xfffe
	s_or_b32 exec_lo, exec_lo, s1
	s_wait_dscnt 0x5
	v_lshrrev_b32_e32 v46, 16, v14
	s_wait_dscnt 0x4
	v_lshrrev_b32_e32 v95, 16, v35
	s_wait_dscnt 0x2
	v_lshrrev_b32_e32 v99, 16, v33
	v_lshrrev_b32_e32 v97, 16, v36
	v_lshrrev_b32_e32 v103, 16, v34
	v_mul_f16_e32 v106, v68, v46
	v_mul_f16_e32 v68, v68, v14
	;; [unrolled: 1-line block ×3, first 2 shown]
	s_wait_dscnt 0x0
	v_lshrrev_b32_e32 v105, 16, v31
	v_lshrrev_b32_e32 v109, 16, v32
	v_fmac_f16_e32 v106, v54, v14
	v_fma_f16 v14, v54, v46, -v68
	v_mul_f16_e32 v46, v70, v35
	v_mul_f16_e32 v68, v67, v99
	v_fmac_f16_e32 v108, v56, v35
	v_mul_f16_e32 v35, v69, v97
	v_mul_f16_e32 v54, v69, v36
	v_fma_f16 v46, v56, v95, -v46
	v_mul_f16_e32 v56, v67, v33
	v_fmac_f16_e32 v68, v53, v33
	v_mul_f16_e32 v33, v66, v103
	v_fmac_f16_e32 v35, v55, v36
	v_fma_f16 v36, v55, v97, -v54
	v_fma_f16 v53, v53, v99, -v56
	v_mul_f16_e32 v55, v65, v105
	v_mul_f16_e32 v56, v65, v31
	v_lshrrev_b32_e32 v45, 16, v29
	v_mul_f16_e32 v54, v66, v34
	v_fmac_f16_e32 v33, v51, v34
	v_mul_f16_e32 v34, v64, v109
	v_lshrrev_b32_e32 v94, 16, v30
	v_fmac_f16_e32 v55, v50, v31
	v_fma_f16 v31, v50, v105, -v56
	v_mul_f16_e32 v50, v64, v32
	v_lshrrev_b32_e32 v96, 16, v25
	v_fmac_f16_e32 v34, v49, v32
	v_sub_f16_e32 v32, v29, v106
	v_sub_f16_e32 v14, v45, v14
	v_lshrrev_b32_e32 v98, 16, v26
	v_fma_f16 v51, v51, v103, -v54
	v_sub_f16_e32 v54, v30, v108
	v_sub_f16_e32 v46, v94, v46
	v_lshrrev_b32_e32 v102, 16, v23
	v_lshrrev_b32_e32 v104, 16, v24
	;; [unrolled: 1-line block ×3, first 2 shown]
	v_fma_f16 v49, v49, v109, -v50
	v_fma_f16 v29, v29, 2.0, -v32
	v_fma_f16 v45, v45, 2.0, -v14
	v_sub_f16_e32 v35, v25, v35
	v_sub_f16_e32 v36, v96, v36
	v_fma_f16 v30, v30, 2.0, -v54
	v_fma_f16 v50, v94, 2.0, -v46
	v_sub_f16_e32 v56, v26, v68
	v_sub_f16_e32 v53, v98, v53
	;; [unrolled: 1-line block ×8, first 2 shown]
	v_fma_f16 v25, v25, 2.0, -v35
	v_fma_f16 v64, v96, 2.0, -v36
	v_pack_b32_f16 v29, v29, v45
	v_pack_b32_f16 v14, v32, v14
	v_fma_f16 v26, v26, 2.0, -v56
	v_fma_f16 v65, v98, 2.0, -v53
	v_pack_b32_f16 v30, v30, v50
	v_pack_b32_f16 v32, v54, v46
	v_fma_f16 v23, v23, 2.0, -v33
	v_fma_f16 v66, v102, 2.0, -v51
	;; [unrolled: 1-line block ×6, first 2 shown]
	v_add_nc_u32_e32 v38, 0x88, v43
	v_add_nc_u32_e32 v37, 0x110, v43
	global_wb scope:SCOPE_SE
	s_barrier_signal -1
	s_barrier_wait -1
	global_inv scope:SCOPE_SE
	ds_store_2addr_b32 v52, v29, v14 offset1:17
	ds_store_2addr_b32 v63, v30, v32 offset1:17
	v_pack_b32_f16 v14, v25, v64
	v_pack_b32_f16 v25, v35, v36
	;; [unrolled: 1-line block ×10, first 2 shown]
	ds_store_2addr_b32 v58, v14, v25 offset1:17
	ds_store_2addr_b32 v59, v26, v29 offset1:17
	ds_store_2addr_b32 v60, v23, v30 offset1:17
	ds_store_2addr_b32 v61, v24, v31 offset1:17
	ds_store_2addr_b32 v62, v13, v32 offset1:17
	s_and_saveexec_b32 s1, s0
	s_cbranch_execz .LBB0_21
; %bb.20:
	v_mul_f16_e32 v13, v57, v101
	v_mul_f16_e32 v14, v57, v28
	v_lshl_add_u32 v25, v47, 2, v42
	s_delay_alu instid0(VALU_DEP_3) | instskip(NEXT) | instid1(VALU_DEP_3)
	v_fmac_f16_e32 v13, v48, v28
	v_fma_f16 v14, v48, v101, -v14
	s_delay_alu instid0(VALU_DEP_2) | instskip(NEXT) | instid1(VALU_DEP_2)
	v_sub_f16_e32 v13, v27, v13
	v_sub_f16_e32 v14, v100, v14
	s_delay_alu instid0(VALU_DEP_2) | instskip(NEXT) | instid1(VALU_DEP_2)
	v_fma_f16 v23, v27, 2.0, -v13
	v_fma_f16 v24, v100, 2.0, -v14
	v_pack_b32_f16 v13, v13, v14
	s_delay_alu instid0(VALU_DEP_2)
	v_pack_b32_f16 v14, v23, v24
	v_add_nc_u32_e32 v23, 0x400, v25
	ds_store_2addr_b32 v23, v14, v13 offset0:220 offset1:237
.LBB0_21:
	s_wait_alu 0xfffe
	s_or_b32 exec_lo, exec_lo, s1
	v_add_nc_u32_e32 v35, 0x400, v44
	global_wb scope:SCOPE_SE
	s_wait_dscnt 0x0
	s_barrier_signal -1
	s_barrier_wait -1
	global_inv scope:SCOPE_SE
	ds_load_2addr_b32 v[13:14], v44 offset1:34
	ds_load_2addr_b32 v[23:24], v44 offset0:136 offset1:170
	ds_load_2addr_b32 v[25:26], v44 offset0:204 offset1:238
	;; [unrolled: 1-line block ×3, first 2 shown]
	ds_load_b32 v36, v44 offset:1904
	ds_load_2addr_b32 v[29:30], v35 offset0:84 offset1:118
	ds_load_2addr_b32 v[31:32], v35 offset0:152 offset1:186
	;; [unrolled: 1-line block ×3, first 2 shown]
	global_wb scope:SCOPE_SE
	s_wait_dscnt 0x0
	s_barrier_signal -1
	s_barrier_wait -1
	global_inv scope:SCOPE_SE
	v_lshrrev_b32_e32 v42, 16, v13
	v_lshrrev_b32_e32 v45, 16, v24
	;; [unrolled: 1-line block ×3, first 2 shown]
	v_mul_f16_e32 v53, v77, v24
	v_lshrrev_b32_e32 v54, 16, v29
	v_lshrrev_b32_e32 v55, 16, v30
	v_mul_f16_e32 v60, v77, v45
	v_mul_f16_e32 v62, v77, v47
	v_fma_f16 v45, v15, v45, -v53
	v_mul_f16_e32 v61, v75, v54
	v_mul_f16_e32 v53, v75, v29
	v_lshrrev_b32_e32 v49, 16, v26
	v_lshrrev_b32_e32 v56, 16, v31
	v_fmac_f16_e32 v60, v15, v24
	v_fmac_f16_e32 v61, v16, v29
	v_mul_f16_e32 v24, v77, v25
	v_fma_f16 v29, v16, v54, -v53
	v_mul_f16_e32 v53, v75, v55
	v_fmac_f16_e32 v62, v15, v25
	v_mul_f16_e32 v25, v75, v30
	v_lshrrev_b32_e32 v57, 16, v33
	v_fma_f16 v15, v15, v47, -v24
	v_mul_f16_e32 v24, v81, v49
	v_fmac_f16_e32 v53, v16, v30
	v_mul_f16_e32 v30, v81, v26
	v_fma_f16 v16, v16, v55, -v25
	v_mul_f16_e32 v25, v80, v56
	v_lshrrev_b32_e32 v58, 16, v32
	v_lshrrev_b32_e32 v59, 16, v34
	v_fmac_f16_e32 v24, v21, v26
	v_mul_f16_e32 v26, v80, v31
	v_fma_f16 v21, v21, v49, -v30
	v_mul_f16_e32 v30, v79, v57
	v_fmac_f16_e32 v25, v22, v31
	v_mul_f16_e32 v31, v79, v33
	v_lshrrev_b32_e32 v52, 16, v36
	v_fma_f16 v22, v22, v56, -v26
	v_mul_f16_e32 v26, v78, v58
	v_fmac_f16_e32 v30, v19, v33
	v_mul_f16_e32 v33, v78, v32
	v_fma_f16 v19, v19, v57, -v31
	v_mul_f16_e32 v31, v76, v59
	v_fmac_f16_e32 v26, v20, v32
	v_mul_f16_e32 v32, v76, v34
	;; [unrolled: 4-line block ×3, first 2 shown]
	v_fma_f16 v17, v17, v59, -v32
	v_add_f16_e32 v32, v60, v61
	v_fmac_f16_e32 v33, v18, v36
	v_add_f16_e32 v36, v13, v60
	v_fma_f16 v18, v18, v52, -v34
	v_add_f16_e32 v34, v45, v29
	v_fma_f16 v13, -0.5, v32, v13
	v_sub_f16_e32 v32, v45, v29
	v_add_f16_e32 v45, v42, v45
	v_lshrrev_b32_e32 v46, 16, v14
	v_fmac_f16_e32 v42, -0.5, v34
	v_sub_f16_e32 v34, v60, v61
	v_fmamk_f16 v47, v32, 0xbaee, v13
	v_fmac_f16_e32 v13, 0x3aee, v32
	v_add_f16_e32 v29, v45, v29
	v_add_f16_e32 v32, v62, v53
	v_fmamk_f16 v45, v34, 0x3aee, v42
	v_fmac_f16_e32 v42, 0xbaee, v34
	v_add_f16_e32 v34, v15, v16
	v_add_f16_e32 v49, v14, v62
	v_fmac_f16_e32 v14, -0.5, v32
	v_sub_f16_e32 v32, v15, v16
	v_add_f16_e32 v15, v46, v15
	v_fmac_f16_e32 v46, -0.5, v34
	v_sub_f16_e32 v34, v62, v53
	v_lshrrev_b32_e32 v48, 16, v27
	v_fmamk_f16 v52, v32, 0xbaee, v14
	v_fmac_f16_e32 v14, 0x3aee, v32
	v_add_f16_e32 v15, v15, v16
	v_add_f16_e32 v16, v24, v25
	v_fmamk_f16 v32, v34, 0x3aee, v46
	v_fmac_f16_e32 v46, 0xbaee, v34
	v_add_f16_e32 v34, v21, v22
	v_add_f16_e32 v49, v49, v53
	;; [unrolled: 1-line block ×3, first 2 shown]
	v_fma_f16 v16, -0.5, v16, v27
	v_sub_f16_e32 v27, v21, v22
	v_add_f16_e32 v21, v48, v21
	v_fmac_f16_e32 v48, -0.5, v34
	v_sub_f16_e32 v24, v24, v25
	v_lshrrev_b32_e32 v50, 16, v28
	v_add_f16_e32 v53, v53, v25
	v_fmamk_f16 v25, v27, 0xbaee, v16
	v_fmac_f16_e32 v16, 0x3aee, v27
	v_add_f16_e32 v21, v21, v22
	v_add_f16_e32 v22, v30, v26
	v_fmamk_f16 v27, v24, 0x3aee, v48
	v_fmac_f16_e32 v48, 0xbaee, v24
	v_add_f16_e32 v24, v19, v20
	v_add_f16_e32 v34, v28, v30
	v_fmac_f16_e32 v28, -0.5, v22
	v_sub_f16_e32 v22, v19, v20
	v_add_f16_e32 v19, v50, v19
	v_fmac_f16_e32 v50, -0.5, v24
	v_sub_f16_e32 v24, v30, v26
	v_lshrrev_b32_e32 v51, 16, v23
	v_add_f16_e32 v34, v34, v26
	v_fmamk_f16 v26, v22, 0xbaee, v28
	v_fmac_f16_e32 v28, 0x3aee, v22
	v_add_f16_e32 v19, v19, v20
	v_add_f16_e32 v20, v31, v33
	v_fmamk_f16 v22, v24, 0x3aee, v50
	v_fmac_f16_e32 v50, 0xbaee, v24
	v_add_f16_e32 v24, v17, v18
	v_add_f16_e32 v36, v36, v61
	;; [unrolled: 1-line block ×3, first 2 shown]
	v_fmac_f16_e32 v23, -0.5, v20
	v_sub_f16_e32 v20, v17, v18
	v_add_f16_e32 v17, v51, v17
	v_fmac_f16_e32 v51, -0.5, v24
	v_sub_f16_e32 v24, v31, v33
	v_pack_b32_f16 v13, v13, v42
	v_fmamk_f16 v31, v20, 0xbaee, v23
	v_fmac_f16_e32 v23, 0x3aee, v20
	v_add_f16_e32 v17, v17, v18
	v_fmamk_f16 v18, v24, 0x3aee, v51
	v_fmac_f16_e32 v51, 0xbaee, v24
	v_pack_b32_f16 v20, v36, v29
	v_pack_b32_f16 v24, v47, v45
	;; [unrolled: 1-line block ×5, first 2 shown]
	v_add_f16_e32 v30, v30, v33
	v_pack_b32_f16 v21, v53, v21
	v_pack_b32_f16 v25, v25, v27
	ds_store_2addr_b32 v44, v20, v24 offset1:34
	ds_store_2addr_b32 v44, v13, v15 offset0:68 offset1:102
	ds_store_2addr_b32 v44, v29, v14 offset0:136 offset1:170
	;; [unrolled: 1-line block ×3, first 2 shown]
	v_pack_b32_f16 v13, v16, v48
	v_pack_b32_f16 v14, v34, v19
	;; [unrolled: 1-line block ×3, first 2 shown]
	v_add_nc_u32_e32 v16, 0x400, v72
	v_pack_b32_f16 v19, v28, v50
	v_pack_b32_f16 v17, v30, v17
	;; [unrolled: 1-line block ×3, first 2 shown]
	v_add_nc_u32_e32 v20, 0x400, v71
	v_pack_b32_f16 v21, v23, v51
	ds_store_b32 v73, v13 offset:1088
	ds_store_2addr_b32 v16, v14, v15 offset0:50 offset1:84
	ds_store_b32 v72, v19 offset:1496
	ds_store_2addr_b32 v20, v17, v18 offset0:152 offset1:186
	ds_store_b32 v71, v21 offset:1904
	global_wb scope:SCOPE_SE
	s_wait_dscnt 0x0
	s_barrier_signal -1
	s_barrier_wait -1
	global_inv scope:SCOPE_SE
	ds_load_2addr_b32 v[13:14], v44 offset1:34
	ds_load_2addr_b32 v[15:16], v44 offset0:68 offset1:102
	ds_load_2addr_b32 v[17:18], v44 offset0:204 offset1:238
	;; [unrolled: 1-line block ×6, first 2 shown]
	ds_load_b32 v27, v44 offset:1904
	s_wait_dscnt 0x7
	v_lshrrev_b32_e32 v28, 16, v13
	s_wait_dscnt 0x6
	v_lshrrev_b32_e32 v29, 16, v16
	;; [unrolled: 2-line block ×6, first 2 shown]
	v_mul_f16_e32 v49, v93, v29
	v_lshrrev_b32_e32 v35, 16, v18
	v_mul_f16_e32 v50, v93, v16
	v_mul_f16_e32 v51, v92, v30
	;; [unrolled: 1-line block ×4, first 2 shown]
	v_fmac_f16_e32 v49, v8, v16
	v_mul_f16_e32 v16, v91, v20
	s_wait_dscnt 0x1
	v_lshrrev_b32_e32 v36, 16, v25
	v_lshrrev_b32_e32 v42, 16, v22
	v_fma_f16 v8, v8, v29, -v50
	v_fmac_f16_e32 v51, v9, v17
	v_fma_f16 v9, v9, v30, -v52
	v_fmac_f16_e32 v53, v10, v20
	v_mul_f16_e32 v17, v90, v32
	v_mul_f16_e32 v20, v90, v21
	;; [unrolled: 1-line block ×4, first 2 shown]
	v_fma_f16 v10, v10, v31, -v16
	v_mul_f16_e32 v16, v88, v35
	v_lshrrev_b32_e32 v45, 16, v24
	v_lshrrev_b32_e32 v46, 16, v19
	v_fmac_f16_e32 v17, v11, v21
	v_fma_f16 v11, v11, v32, -v20
	v_fmac_f16_e32 v29, v4, v23
	v_fma_f16 v4, v4, v34, -v30
	v_mul_f16_e32 v20, v88, v18
	v_mul_f16_e32 v21, v87, v36
	;; [unrolled: 1-line block ×4, first 2 shown]
	v_fmac_f16_e32 v16, v5, v18
	v_mul_f16_e32 v18, v86, v22
	v_lshrrev_b32_e32 v47, 16, v26
	v_fma_f16 v5, v5, v35, -v20
	v_fmac_f16_e32 v21, v6, v25
	v_fma_f16 v6, v6, v36, -v23
	v_fmac_f16_e32 v30, v7, v22
	v_mul_f16_e32 v20, v85, v45
	v_mul_f16_e32 v22, v85, v24
	;; [unrolled: 1-line block ×4, first 2 shown]
	v_fma_f16 v7, v7, v42, -v18
	v_add_f16_e32 v18, v51, v53
	s_wait_dscnt 0x0
	v_lshrrev_b32_e32 v48, 16, v27
	v_fmac_f16_e32 v20, v0, v24
	v_fma_f16 v0, v0, v45, -v22
	v_fmac_f16_e32 v23, v1, v19
	v_fma_f16 v1, v1, v46, -v25
	v_mul_f16_e32 v19, v83, v47
	v_mul_f16_e32 v22, v83, v26
	v_add_f16_e32 v25, v13, v49
	v_fma_f16 v18, -0.5, v18, v13
	v_sub_f16_e32 v31, v8, v11
	v_mul_f16_e32 v24, v82, v48
	v_fmac_f16_e32 v19, v2, v26
	v_fma_f16 v2, v2, v47, -v22
	v_add_f16_e32 v22, v25, v51
	v_fmamk_f16 v25, v31, 0xbb9c, v18
	v_sub_f16_e32 v26, v9, v10
	v_sub_f16_e32 v32, v49, v51
	;; [unrolled: 1-line block ×3, first 2 shown]
	v_add_f16_e32 v35, v49, v17
	v_fmac_f16_e32 v18, 0x3b9c, v31
	v_fmac_f16_e32 v24, v3, v27
	v_mul_f16_e32 v27, v82, v27
	v_fmac_f16_e32 v25, 0xb8b4, v26
	v_add_f16_e32 v32, v32, v34
	v_fma_f16 v13, -0.5, v35, v13
	v_sub_f16_e32 v34, v51, v49
	v_sub_f16_e32 v35, v53, v17
	v_fmac_f16_e32 v18, 0x38b4, v26
	v_add_f16_e32 v36, v28, v8
	v_add_f16_e32 v42, v9, v10
	;; [unrolled: 1-line block ×3, first 2 shown]
	v_fma_f16 v3, v3, v48, -v27
	v_fmac_f16_e32 v25, 0x34f2, v32
	v_fmamk_f16 v27, v26, 0x3b9c, v13
	v_add_f16_e32 v34, v34, v35
	v_fmac_f16_e32 v13, 0xbb9c, v26
	v_add_f16_e32 v26, v36, v9
	v_fma_f16 v35, -0.5, v42, v28
	v_fmac_f16_e32 v18, 0x34f2, v32
	v_add_f16_e32 v32, v8, v11
	v_sub_f16_e32 v42, v8, v9
	v_sub_f16_e32 v8, v9, v8
	;; [unrolled: 1-line block ×3, first 2 shown]
	v_add_f16_e32 v22, v22, v17
	v_fmac_f16_e32 v27, 0xb8b4, v31
	v_sub_f16_e32 v17, v49, v17
	v_fmac_f16_e32 v13, 0x38b4, v31
	v_sub_f16_e32 v36, v51, v53
	v_fmac_f16_e32 v28, -0.5, v32
	v_add_f16_e32 v8, v8, v9
	v_add_f16_e32 v9, v14, v29
	v_fmac_f16_e32 v27, 0x34f2, v34
	v_add_f16_e32 v26, v26, v10
	v_fmamk_f16 v31, v17, 0x3b9c, v35
	v_sub_f16_e32 v45, v11, v10
	v_fmac_f16_e32 v13, 0x34f2, v34
	v_fmac_f16_e32 v35, 0xbb9c, v17
	v_fmamk_f16 v34, v36, 0xbb9c, v28
	v_add_f16_e32 v10, v16, v21
	v_fmac_f16_e32 v28, 0x3b9c, v36
	v_add_f16_e32 v9, v9, v16
	v_lshrrev_b32_e32 v33, 16, v14
	v_add_f16_e32 v26, v26, v11
	v_fmac_f16_e32 v31, 0x38b4, v36
	v_add_f16_e32 v32, v42, v45
	v_fmac_f16_e32 v35, 0xb8b4, v36
	v_fmac_f16_e32 v34, 0x38b4, v17
	v_fma_f16 v10, -0.5, v10, v14
	v_sub_f16_e32 v11, v4, v7
	v_sub_f16_e32 v42, v29, v16
	;; [unrolled: 1-line block ×3, first 2 shown]
	v_add_f16_e32 v46, v29, v30
	v_fmac_f16_e32 v28, 0xb8b4, v17
	v_add_f16_e32 v9, v9, v21
	v_fmac_f16_e32 v31, 0x34f2, v32
	v_fmac_f16_e32 v35, 0x34f2, v32
	v_fmac_f16_e32 v34, 0x34f2, v8
	v_fmamk_f16 v32, v11, 0xbb9c, v10
	v_sub_f16_e32 v36, v5, v6
	v_add_f16_e32 v17, v42, v45
	v_fmac_f16_e32 v14, -0.5, v46
	v_fmac_f16_e32 v28, 0x34f2, v8
	v_add_f16_e32 v8, v9, v30
	v_fmac_f16_e32 v10, 0x3b9c, v11
	v_sub_f16_e32 v42, v16, v29
	v_sub_f16_e32 v45, v21, v30
	v_add_f16_e32 v46, v33, v4
	v_add_f16_e32 v47, v5, v6
	v_sub_f16_e32 v29, v29, v30
	v_add_f16_e32 v30, v4, v7
	v_fmac_f16_e32 v32, 0xb8b4, v36
	v_fmamk_f16 v9, v36, 0x3b9c, v14
	v_fmac_f16_e32 v10, 0x38b4, v36
	v_add_f16_e32 v42, v42, v45
	v_fmac_f16_e32 v14, 0xbb9c, v36
	v_add_f16_e32 v36, v46, v5
	v_fma_f16 v45, -0.5, v47, v33
	v_sub_f16_e32 v16, v16, v21
	v_sub_f16_e32 v21, v4, v5
	v_fmac_f16_e32 v33, -0.5, v30
	v_sub_f16_e32 v4, v5, v4
	v_sub_f16_e32 v5, v6, v7
	v_fmac_f16_e32 v32, 0x34f2, v17
	v_fmac_f16_e32 v9, 0xb8b4, v11
	;; [unrolled: 1-line block ×4, first 2 shown]
	v_add_f16_e32 v11, v36, v6
	v_fmamk_f16 v17, v29, 0x3b9c, v45
	v_sub_f16_e32 v36, v7, v6
	v_fmac_f16_e32 v45, 0xbb9c, v29
	v_fmamk_f16 v30, v16, 0xbb9c, v33
	v_add_f16_e32 v4, v4, v5
	v_add_f16_e32 v5, v15, v20
	v_fmac_f16_e32 v33, 0x3b9c, v16
	v_fmac_f16_e32 v17, 0x38b4, v16
	v_add_f16_e32 v21, v21, v36
	v_add_f16_e32 v6, v23, v19
	v_fmac_f16_e32 v45, 0xb8b4, v16
	v_fmac_f16_e32 v30, 0x38b4, v29
	v_add_f16_e32 v5, v5, v23
	v_fmac_f16_e32 v33, 0xb8b4, v29
	v_add_f16_e32 v29, v20, v24
	v_lshrrev_b32_e32 v44, 16, v15
	v_fmac_f16_e32 v9, 0x34f2, v42
	v_fmac_f16_e32 v14, 0x34f2, v42
	;; [unrolled: 1-line block ×3, first 2 shown]
	v_fma_f16 v6, -0.5, v6, v15
	v_fmac_f16_e32 v45, 0x34f2, v21
	v_sub_f16_e32 v21, v1, v2
	v_sub_f16_e32 v36, v20, v23
	;; [unrolled: 1-line block ×3, first 2 shown]
	v_add_f16_e32 v5, v5, v19
	v_fmac_f16_e32 v15, -0.5, v29
	v_add_f16_e32 v11, v11, v7
	v_sub_f16_e32 v7, v0, v3
	v_fmac_f16_e32 v30, 0x34f2, v4
	v_add_f16_e32 v36, v36, v42
	v_fmac_f16_e32 v33, 0x34f2, v4
	v_add_f16_e32 v4, v5, v24
	v_fmamk_f16 v5, v21, 0x3b9c, v15
	v_sub_f16_e32 v29, v23, v20
	v_sub_f16_e32 v42, v19, v24
	v_fmac_f16_e32 v15, 0xbb9c, v21
	v_fmamk_f16 v16, v7, 0xbb9c, v6
	v_fmac_f16_e32 v6, 0x3b9c, v7
	v_fmac_f16_e32 v5, 0xb8b4, v7
	v_add_f16_e32 v29, v29, v42
	v_fmac_f16_e32 v15, 0x38b4, v7
	v_fmac_f16_e32 v16, 0xb8b4, v21
	;; [unrolled: 1-line block ×3, first 2 shown]
	v_add_f16_e32 v21, v44, v0
	v_add_f16_e32 v46, v1, v2
	v_fmac_f16_e32 v5, 0x34f2, v29
	v_fmac_f16_e32 v15, 0x34f2, v29
	v_add_f16_e32 v29, v0, v3
	v_add_f16_e32 v7, v21, v1
	v_fma_f16 v21, -0.5, v46, v44
	v_sub_f16_e32 v20, v20, v24
	v_sub_f16_e32 v19, v23, v19
	v_fmac_f16_e32 v44, -0.5, v29
	v_fmac_f16_e32 v16, 0x34f2, v36
	v_fmac_f16_e32 v6, 0x34f2, v36
	v_fmamk_f16 v24, v20, 0x3b9c, v21
	v_sub_f16_e32 v23, v0, v1
	v_sub_f16_e32 v36, v3, v2
	v_fmamk_f16 v29, v19, 0xbb9c, v44
	v_sub_f16_e32 v0, v1, v0
	v_sub_f16_e32 v1, v2, v3
	v_fmac_f16_e32 v21, 0xbb9c, v20
	v_fmac_f16_e32 v44, 0x3b9c, v19
	v_add_f16_e32 v7, v7, v2
	v_fmac_f16_e32 v24, 0x38b4, v19
	v_add_f16_e32 v23, v23, v36
	;; [unrolled: 2-line block ×3, first 2 shown]
	v_fmac_f16_e32 v21, 0xb8b4, v19
	v_fmac_f16_e32 v44, 0xb8b4, v20
	v_pack_b32_f16 v1, v22, v26
	v_add_f16_e32 v7, v7, v3
	v_pack_b32_f16 v3, v25, v31
	v_pack_b32_f16 v19, v27, v34
	;; [unrolled: 1-line block ×4, first 2 shown]
	v_add_nc_u32_e32 v2, 0x400, v43
	v_fmac_f16_e32 v24, 0x34f2, v23
	v_fmac_f16_e32 v29, 0x34f2, v0
	;; [unrolled: 1-line block ×4, first 2 shown]
	ds_store_b32 v43, v1
	ds_store_2addr_b32 v43, v3, v19 offset0:102 offset1:204
	ds_store_2addr_b32 v2, v13, v18 offset0:50 offset1:152
	v_pack_b32_f16 v1, v32, v17
	v_pack_b32_f16 v3, v9, v30
	;; [unrolled: 1-line block ×5, first 2 shown]
	v_add_nc_u32_e32 v10, 0x400, v38
	v_pack_b32_f16 v4, v4, v7
	v_pack_b32_f16 v7, v16, v24
	;; [unrolled: 1-line block ×5, first 2 shown]
	v_add_nc_u32_e32 v13, 0x400, v37
	ds_store_2addr_b32 v38, v1, v3 offset0:102 offset1:204
	ds_store_2addr_b32 v10, v8, v9 offset0:50 offset1:152
	;; [unrolled: 1-line block ×5, first 2 shown]
	global_wb scope:SCOPE_SE
	s_wait_dscnt 0x0
	s_barrier_signal -1
	s_barrier_wait -1
	global_inv scope:SCOPE_SE
	s_and_b32 exec_lo, exec_lo, vcc_lo
	s_cbranch_execz .LBB0_23
; %bb.22:
	global_load_b32 v0, v40, s[12:13]
	ds_load_b32 v1, v43
	s_mov_b32 s8, 0x10101010
	s_mov_b32 s9, 0x3f601010
	v_mad_co_u64_u32 v[7:8], null, s4, v41, 0
	s_wait_dscnt 0x0
	v_lshrrev_b32_e32 v3, 16, v1
	s_wait_loadcnt 0x0
	v_lshrrev_b32_e32 v4, 16, v0
	s_delay_alu instid0(VALU_DEP_1) | instskip(SKIP_1) | instid1(VALU_DEP_2)
	v_mul_f16_e32 v5, v3, v4
	v_mul_f16_e32 v4, v1, v4
	v_fmac_f16_e32 v5, v1, v0
	s_delay_alu instid0(VALU_DEP_2) | instskip(NEXT) | instid1(VALU_DEP_2)
	v_fma_f16 v0, v0, v3, -v4
	v_cvt_f32_f16_e32 v1, v5
	s_delay_alu instid0(VALU_DEP_2) | instskip(SKIP_1) | instid1(VALU_DEP_3)
	v_cvt_f32_f16_e32 v3, v0
	v_mad_co_u64_u32 v[5:6], null, s6, v12, 0
	v_cvt_f64_f32_e32 v[0:1], v1
	s_delay_alu instid0(VALU_DEP_3) | instskip(SKIP_1) | instid1(VALU_DEP_2)
	v_cvt_f64_f32_e32 v[3:4], v3
	s_wait_alu 0xfffe
	v_mul_f64_e32 v[0:1], s[8:9], v[0:1]
	s_delay_alu instid0(VALU_DEP_2) | instskip(NEXT) | instid1(VALU_DEP_2)
	v_mul_f64_e32 v[3:4], s[8:9], v[3:4]
	v_and_or_b32 v0, 0x1ff, v1, v0
	s_delay_alu instid0(VALU_DEP_2)
	v_and_or_b32 v3, 0x1ff, v4, v3
	v_lshrrev_b32_e32 v9, 8, v1
	v_bfe_u32 v11, v1, 20, 11
	v_bfe_u32 v13, v4, 20, 11
	v_cmp_ne_u32_e32 vcc_lo, 0, v0
	v_lshrrev_b32_e32 v10, 8, v4
	v_mov_b32_e32 v0, v8
	v_sub_nc_u32_e32 v15, 0x3f1, v11
	v_sub_nc_u32_e32 v16, 0x3f1, v13
	v_cndmask_b32_e64 v14, 0, 1, vcc_lo
	v_cmp_ne_u32_e32 vcc_lo, 0, v3
	v_lshrrev_b32_e32 v4, 16, v4
	v_add_nc_u32_e32 v11, 0xfffffc10, v11
	v_add_nc_u32_e32 v13, 0xfffffc10, v13
	v_and_or_b32 v14, 0xffe, v9, v14
	s_wait_alu 0xfffd
	v_cndmask_b32_e64 v3, 0, 1, vcc_lo
	v_mad_co_u64_u32 v[8:9], null, s7, v12, v[6:7]
	v_med3_i32 v12, v15, 0, 13
	v_med3_i32 v15, v16, 0, 13
	s_delay_alu instid0(VALU_DEP_4) | instskip(SKIP_3) | instid1(VALU_DEP_4)
	v_and_or_b32 v3, 0xffe, v10, v3
	v_or_b32_e32 v16, 0x1000, v14
	v_mad_co_u64_u32 v[9:10], null, s5, v41, v[0:1]
	v_mov_b32_e32 v6, v8
	v_or_b32_e32 v17, 0x1000, v3
	s_delay_alu instid0(VALU_DEP_4)
	v_lshrrev_b32_e32 v0, v12, v16
	v_lshrrev_b32_e32 v1, 16, v1
	s_mul_u64 s[6:7], s[4:5], 0x78
	v_lshlrev_b64_e32 v[5:6], 2, v[5:6]
	v_lshrrev_b32_e32 v10, v15, v17
	v_lshlrev_b32_e32 v12, v12, v0
	s_delay_alu instid0(VALU_DEP_2) | instskip(NEXT) | instid1(VALU_DEP_2)
	v_dual_mov_b32 v8, v9 :: v_dual_lshlrev_b32 v9, v15, v10
	v_cmp_ne_u32_e32 vcc_lo, v12, v16
	v_lshl_or_b32 v15, v11, 12, v14
	s_delay_alu instid0(VALU_DEP_3) | instskip(SKIP_3) | instid1(VALU_DEP_2)
	v_lshlrev_b64_e32 v[7:8], 2, v[7:8]
	s_wait_alu 0xfffd
	v_cndmask_b32_e64 v12, 0, 1, vcc_lo
	v_cmp_ne_u32_e32 vcc_lo, v9, v17
	v_or_b32_e32 v0, v0, v12
	s_wait_alu 0xfffd
	v_cndmask_b32_e64 v9, 0, 1, vcc_lo
	v_cmp_gt_i32_e32 vcc_lo, 1, v11
	v_lshl_or_b32 v12, v13, 12, v3
	s_delay_alu instid0(VALU_DEP_3)
	v_or_b32_e32 v9, v10, v9
	s_wait_alu 0xfffd
	v_cndmask_b32_e32 v0, v15, v0, vcc_lo
	v_cmp_gt_i32_e32 vcc_lo, 1, v13
	s_wait_alu 0xfffd
	v_cndmask_b32_e32 v9, v12, v9, vcc_lo
	v_cmp_ne_u32_e32 vcc_lo, 0, v14
	s_delay_alu instid0(VALU_DEP_2)
	v_and_b32_e32 v14, 7, v9
	s_wait_alu 0xfffd
	v_cndmask_b32_e64 v10, 0, 1, vcc_lo
	v_cmp_ne_u32_e32 vcc_lo, 0, v3
	v_lshrrev_b32_e32 v9, 2, v9
	v_cmp_lt_i32_e64 s1, 5, v14
	v_cmp_eq_u32_e64 s2, 3, v14
	s_wait_alu 0xfffd
	v_cndmask_b32_e64 v3, 0, 1, vcc_lo
	v_lshl_or_b32 v10, v10, 9, 0x7c00
	s_delay_alu instid0(VALU_DEP_2) | instskip(SKIP_2) | instid1(VALU_DEP_2)
	v_lshl_or_b32 v3, v3, 9, 0x7c00
	v_and_b32_e32 v12, 7, v0
	v_lshrrev_b32_e32 v0, 2, v0
	v_cmp_lt_i32_e32 vcc_lo, 5, v12
	v_cmp_eq_u32_e64 s0, 3, v12
	s_delay_alu instid0(VALU_DEP_1)
	s_or_b32 vcc_lo, s0, vcc_lo
	s_wait_alu 0xfffe
	v_add_co_ci_u32_e32 v0, vcc_lo, 0, v0, vcc_lo
	s_or_b32 vcc_lo, s2, s1
	s_wait_alu 0xfffe
	v_add_co_ci_u32_e32 v9, vcc_lo, 0, v9, vcc_lo
	v_cmp_gt_i32_e32 vcc_lo, 31, v11
	s_wait_alu 0xfffd
	v_cndmask_b32_e32 v0, 0x7c00, v0, vcc_lo
	v_cmp_gt_i32_e32 vcc_lo, 31, v13
	s_wait_alu 0xfffd
	v_cndmask_b32_e32 v9, 0x7c00, v9, vcc_lo
	v_cmp_eq_u32_e32 vcc_lo, 0x40f, v11
	s_wait_alu 0xfffd
	v_cndmask_b32_e32 v0, v0, v10, vcc_lo
	v_cmp_eq_u32_e32 vcc_lo, 0x40f, v13
	s_wait_alu 0xfffd
	v_cndmask_b32_e32 v3, v9, v3, vcc_lo
	s_delay_alu instid0(VALU_DEP_3)
	v_and_or_b32 v9, 0x8000, v1, v0
	v_add_co_u32 v0, vcc_lo, s14, v5
	s_wait_alu 0xfffd
	v_add_co_ci_u32_e32 v1, vcc_lo, s15, v6, vcc_lo
	v_and_or_b32 v5, 0x8000, v4, v3
	v_and_b32_e32 v6, 0xffff, v9
	v_add_co_u32 v3, vcc_lo, v0, v7
	s_wait_alu 0xfffd
	v_add_co_ci_u32_e32 v4, vcc_lo, v1, v8, vcc_lo
	s_delay_alu instid0(VALU_DEP_3)
	v_lshl_or_b32 v5, v5, 16, v6
	global_store_b32 v[3:4], v5, off
	global_load_b32 v7, v40, s[12:13] offset:120
	ds_load_2addr_b32 v[5:6], v43 offset0:30 offset1:60
	s_wait_dscnt 0x0
	v_lshrrev_b32_e32 v8, 16, v5
	s_wait_loadcnt 0x0
	v_lshrrev_b32_e32 v9, 16, v7
	s_delay_alu instid0(VALU_DEP_1) | instskip(SKIP_1) | instid1(VALU_DEP_2)
	v_mul_f16_e32 v10, v8, v9
	v_mul_f16_e32 v9, v5, v9
	v_fmac_f16_e32 v10, v5, v7
	s_delay_alu instid0(VALU_DEP_2) | instskip(NEXT) | instid1(VALU_DEP_2)
	v_fma_f16 v5, v7, v8, -v9
	v_cvt_f32_f16_e32 v7, v10
	s_delay_alu instid0(VALU_DEP_2) | instskip(NEXT) | instid1(VALU_DEP_2)
	v_cvt_f32_f16_e32 v5, v5
	v_cvt_f64_f32_e32 v[7:8], v7
	s_delay_alu instid0(VALU_DEP_2) | instskip(NEXT) | instid1(VALU_DEP_2)
	v_cvt_f64_f32_e32 v[9:10], v5
	v_mul_f64_e32 v[7:8], s[8:9], v[7:8]
	s_delay_alu instid0(VALU_DEP_2) | instskip(NEXT) | instid1(VALU_DEP_2)
	v_mul_f64_e32 v[9:10], s[8:9], v[9:10]
	v_and_or_b32 v5, 0x1ff, v8, v7
	s_delay_alu instid0(VALU_DEP_2)
	v_and_or_b32 v9, 0x1ff, v10, v9
	v_lshrrev_b32_e32 v7, 8, v8
	v_bfe_u32 v11, v8, 20, 11
	v_lshrrev_b32_e32 v12, 8, v10
	v_cmp_ne_u32_e32 vcc_lo, 0, v5
	v_bfe_u32 v13, v10, 20, 11
	v_lshrrev_b32_e32 v8, 16, v8
	v_sub_nc_u32_e32 v14, 0x3f1, v11
	v_add_nc_u32_e32 v11, 0xfffffc10, v11
	s_wait_alu 0xfffd
	v_cndmask_b32_e64 v5, 0, 1, vcc_lo
	v_cmp_ne_u32_e32 vcc_lo, 0, v9
	v_lshrrev_b32_e32 v10, 16, v10
	s_delay_alu instid0(VALU_DEP_3) | instskip(SKIP_3) | instid1(VALU_DEP_2)
	v_and_or_b32 v5, 0xffe, v7, v5
	s_wait_alu 0xfffd
	v_cndmask_b32_e64 v9, 0, 1, vcc_lo
	v_sub_nc_u32_e32 v7, 0x3f1, v13
	v_and_or_b32 v9, 0xffe, v12, v9
	v_med3_i32 v12, v14, 0, 13
	v_or_b32_e32 v14, 0x1000, v5
	s_delay_alu instid0(VALU_DEP_4) | instskip(NEXT) | instid1(VALU_DEP_4)
	v_med3_i32 v7, v7, 0, 13
	v_or_b32_e32 v15, 0x1000, v9
	s_delay_alu instid0(VALU_DEP_3) | instskip(NEXT) | instid1(VALU_DEP_2)
	v_lshrrev_b32_e32 v16, v12, v14
	v_lshrrev_b32_e32 v17, v7, v15
	s_delay_alu instid0(VALU_DEP_2) | instskip(NEXT) | instid1(VALU_DEP_2)
	v_lshlrev_b32_e32 v12, v12, v16
	v_lshlrev_b32_e32 v7, v7, v17
	s_delay_alu instid0(VALU_DEP_2) | instskip(SKIP_4) | instid1(VALU_DEP_2)
	v_cmp_ne_u32_e32 vcc_lo, v12, v14
	v_lshl_or_b32 v14, v11, 12, v5
	s_wait_alu 0xfffd
	v_cndmask_b32_e64 v12, 0, 1, vcc_lo
	v_cmp_ne_u32_e32 vcc_lo, v7, v15
	v_or_b32_e32 v12, v16, v12
	s_wait_alu 0xfffd
	v_cndmask_b32_e64 v7, 0, 1, vcc_lo
	v_cmp_gt_i32_e32 vcc_lo, 1, v11
	v_add_nc_u32_e32 v13, 0xfffffc10, v13
	s_delay_alu instid0(VALU_DEP_3) | instskip(SKIP_2) | instid1(VALU_DEP_3)
	v_or_b32_e32 v7, v17, v7
	s_wait_alu 0xfffd
	v_cndmask_b32_e32 v12, v14, v12, vcc_lo
	v_lshl_or_b32 v15, v13, 12, v9
	v_cmp_gt_i32_e32 vcc_lo, 1, v13
	s_wait_alu 0xfffd
	s_delay_alu instid0(VALU_DEP_2) | instskip(SKIP_4) | instid1(VALU_DEP_2)
	v_cndmask_b32_e32 v7, v15, v7, vcc_lo
	v_cmp_ne_u32_e32 vcc_lo, 0, v5
	s_wait_alu 0xfffd
	v_cndmask_b32_e64 v5, 0, 1, vcc_lo
	v_cmp_ne_u32_e32 vcc_lo, 0, v9
	v_lshl_or_b32 v5, v5, 9, 0x7c00
	v_and_b32_e32 v14, 7, v12
	s_wait_alu 0xfffd
	v_cndmask_b32_e64 v9, 0, 1, vcc_lo
	v_lshrrev_b32_e32 v12, 2, v12
	s_delay_alu instid0(VALU_DEP_3) | instskip(SKIP_1) | instid1(VALU_DEP_4)
	v_cmp_lt_i32_e32 vcc_lo, 5, v14
	v_cmp_eq_u32_e64 s0, 3, v14
	v_lshl_or_b32 v9, v9, 9, 0x7c00
	s_delay_alu instid0(VALU_DEP_2) | instskip(SKIP_4) | instid1(VALU_DEP_2)
	s_or_b32 vcc_lo, s0, vcc_lo
	s_wait_alu 0xfffe
	v_add_co_ci_u32_e32 v12, vcc_lo, 0, v12, vcc_lo
	v_and_b32_e32 v15, 7, v7
	v_lshrrev_b32_e32 v7, 2, v7
	v_cmp_lt_i32_e64 s1, 5, v15
	v_cmp_eq_u32_e64 s2, 3, v15
	s_delay_alu instid0(VALU_DEP_1)
	s_or_b32 vcc_lo, s2, s1
	s_wait_alu 0xfffe
	v_add_co_ci_u32_e32 v7, vcc_lo, 0, v7, vcc_lo
	v_cmp_gt_i32_e32 vcc_lo, 31, v11
	s_wait_alu 0xfffd
	v_cndmask_b32_e32 v12, 0x7c00, v12, vcc_lo
	v_cmp_gt_i32_e32 vcc_lo, 31, v13
	s_wait_alu 0xfffd
	v_cndmask_b32_e32 v7, 0x7c00, v7, vcc_lo
	v_cmp_eq_u32_e32 vcc_lo, 0x40f, v11
	s_wait_alu 0xfffd
	v_cndmask_b32_e32 v5, v12, v5, vcc_lo
	v_cmp_eq_u32_e32 vcc_lo, 0x40f, v13
	s_delay_alu instid0(VALU_DEP_2)
	v_and_or_b32 v5, 0x8000, v8, v5
	s_wait_alu 0xfffd
	v_cndmask_b32_e32 v7, v7, v9, vcc_lo
	v_add_co_u32 v3, vcc_lo, v3, s6
	s_wait_alu 0xfffd
	v_add_co_ci_u32_e32 v4, vcc_lo, s7, v4, vcc_lo
	s_delay_alu instid0(VALU_DEP_3) | instskip(SKIP_1) | instid1(VALU_DEP_1)
	v_and_or_b32 v7, 0x8000, v10, v7
	v_and_b32_e32 v5, 0xffff, v5
	v_lshl_or_b32 v5, v7, 16, v5
	v_lshrrev_b32_e32 v7, 16, v6
	global_store_b32 v[3:4], v5, off
	global_load_b32 v5, v40, s[12:13] offset:240
	s_wait_loadcnt 0x0
	v_lshrrev_b32_e32 v8, 16, v5
	s_delay_alu instid0(VALU_DEP_1) | instskip(SKIP_1) | instid1(VALU_DEP_2)
	v_mul_f16_e32 v9, v7, v8
	v_mul_f16_e32 v8, v6, v8
	v_fmac_f16_e32 v9, v6, v5
	s_delay_alu instid0(VALU_DEP_2) | instskip(NEXT) | instid1(VALU_DEP_2)
	v_fma_f16 v5, v5, v7, -v8
	v_cvt_f32_f16_e32 v6, v9
	s_delay_alu instid0(VALU_DEP_2) | instskip(NEXT) | instid1(VALU_DEP_2)
	v_cvt_f32_f16_e32 v7, v5
	v_cvt_f64_f32_e32 v[5:6], v6
	s_delay_alu instid0(VALU_DEP_2) | instskip(NEXT) | instid1(VALU_DEP_2)
	v_cvt_f64_f32_e32 v[7:8], v7
	v_mul_f64_e32 v[5:6], s[8:9], v[5:6]
	s_delay_alu instid0(VALU_DEP_2) | instskip(NEXT) | instid1(VALU_DEP_2)
	v_mul_f64_e32 v[7:8], s[8:9], v[7:8]
	v_and_or_b32 v5, 0x1ff, v6, v5
	s_delay_alu instid0(VALU_DEP_2)
	v_and_or_b32 v7, 0x1ff, v8, v7
	v_lshrrev_b32_e32 v9, 8, v6
	v_bfe_u32 v10, v6, 20, 11
	v_lshrrev_b32_e32 v11, 8, v8
	v_cmp_ne_u32_e32 vcc_lo, 0, v5
	v_bfe_u32 v12, v8, 20, 11
	v_lshrrev_b32_e32 v6, 16, v6
	v_sub_nc_u32_e32 v13, 0x3f1, v10
	v_add_nc_u32_e32 v10, 0xfffffc10, v10
	s_wait_alu 0xfffd
	v_cndmask_b32_e64 v5, 0, 1, vcc_lo
	v_cmp_ne_u32_e32 vcc_lo, 0, v7
	v_lshrrev_b32_e32 v8, 16, v8
	s_delay_alu instid0(VALU_DEP_3) | instskip(SKIP_3) | instid1(VALU_DEP_2)
	v_and_or_b32 v5, 0xffe, v9, v5
	s_wait_alu 0xfffd
	v_cndmask_b32_e64 v7, 0, 1, vcc_lo
	v_sub_nc_u32_e32 v9, 0x3f1, v12
	v_and_or_b32 v7, 0xffe, v11, v7
	v_med3_i32 v11, v13, 0, 13
	v_or_b32_e32 v13, 0x1000, v5
	s_delay_alu instid0(VALU_DEP_4) | instskip(NEXT) | instid1(VALU_DEP_4)
	v_med3_i32 v9, v9, 0, 13
	v_or_b32_e32 v14, 0x1000, v7
	s_delay_alu instid0(VALU_DEP_3) | instskip(NEXT) | instid1(VALU_DEP_2)
	v_lshrrev_b32_e32 v15, v11, v13
	v_lshrrev_b32_e32 v16, v9, v14
	s_delay_alu instid0(VALU_DEP_2) | instskip(NEXT) | instid1(VALU_DEP_2)
	v_lshlrev_b32_e32 v11, v11, v15
	v_lshlrev_b32_e32 v9, v9, v16
	s_delay_alu instid0(VALU_DEP_2) | instskip(SKIP_4) | instid1(VALU_DEP_2)
	v_cmp_ne_u32_e32 vcc_lo, v11, v13
	v_lshl_or_b32 v13, v10, 12, v5
	s_wait_alu 0xfffd
	v_cndmask_b32_e64 v11, 0, 1, vcc_lo
	v_cmp_ne_u32_e32 vcc_lo, v9, v14
	v_or_b32_e32 v11, v15, v11
	s_wait_alu 0xfffd
	v_cndmask_b32_e64 v9, 0, 1, vcc_lo
	v_cmp_gt_i32_e32 vcc_lo, 1, v10
	s_delay_alu instid0(VALU_DEP_2) | instskip(SKIP_2) | instid1(VALU_DEP_1)
	v_or_b32_e32 v9, v16, v9
	s_wait_alu 0xfffd
	v_dual_cndmask_b32 v11, v13, v11 :: v_dual_add_nc_u32 v12, 0xfffffc10, v12
	v_lshl_or_b32 v14, v12, 12, v7
	v_cmp_gt_i32_e32 vcc_lo, 1, v12
	s_delay_alu instid0(VALU_DEP_3)
	v_and_b32_e32 v13, 7, v11
	v_lshrrev_b32_e32 v11, 2, v11
	s_wait_alu 0xfffd
	v_cndmask_b32_e32 v9, v14, v9, vcc_lo
	v_cmp_ne_u32_e32 vcc_lo, 0, v5
	v_cmp_eq_u32_e64 s0, 3, v13
	s_wait_alu 0xfffd
	v_cndmask_b32_e64 v5, 0, 1, vcc_lo
	v_cmp_ne_u32_e32 vcc_lo, 0, v7
	s_delay_alu instid0(VALU_DEP_2) | instskip(SKIP_3) | instid1(VALU_DEP_2)
	v_lshl_or_b32 v5, v5, 9, 0x7c00
	s_wait_alu 0xfffd
	v_cndmask_b32_e64 v7, 0, 1, vcc_lo
	v_cmp_lt_i32_e32 vcc_lo, 5, v13
	v_lshl_or_b32 v7, v7, 9, 0x7c00
	s_or_b32 vcc_lo, s0, vcc_lo
	s_wait_alu 0xfffe
	v_add_co_ci_u32_e32 v11, vcc_lo, 0, v11, vcc_lo
	v_and_b32_e32 v14, 7, v9
	v_lshrrev_b32_e32 v9, 2, v9
	s_delay_alu instid0(VALU_DEP_2) | instskip(SKIP_1) | instid1(VALU_DEP_1)
	v_cmp_lt_i32_e64 s1, 5, v14
	v_cmp_eq_u32_e64 s2, 3, v14
	s_or_b32 vcc_lo, s2, s1
	s_wait_alu 0xfffe
	v_add_co_ci_u32_e32 v9, vcc_lo, 0, v9, vcc_lo
	v_cmp_gt_i32_e32 vcc_lo, 31, v10
	s_wait_alu 0xfffd
	v_cndmask_b32_e32 v11, 0x7c00, v11, vcc_lo
	v_cmp_gt_i32_e32 vcc_lo, 31, v12
	s_wait_alu 0xfffd
	v_cndmask_b32_e32 v9, 0x7c00, v9, vcc_lo
	v_cmp_eq_u32_e32 vcc_lo, 0x40f, v10
	s_wait_alu 0xfffd
	v_cndmask_b32_e32 v5, v11, v5, vcc_lo
	v_cmp_eq_u32_e32 vcc_lo, 0x40f, v12
	s_delay_alu instid0(VALU_DEP_2)
	v_and_or_b32 v5, 0x8000, v6, v5
	s_wait_alu 0xfffd
	v_cndmask_b32_e32 v7, v9, v7, vcc_lo
	v_add_co_u32 v3, vcc_lo, v3, s6
	s_wait_alu 0xfffd
	v_add_co_ci_u32_e32 v4, vcc_lo, s7, v4, vcc_lo
	s_delay_alu instid0(VALU_DEP_3) | instskip(SKIP_1) | instid1(VALU_DEP_1)
	v_and_or_b32 v6, 0x8000, v8, v7
	v_and_b32_e32 v5, 0xffff, v5
	v_lshl_or_b32 v5, v6, 16, v5
	global_store_b32 v[3:4], v5, off
	global_load_b32 v7, v40, s[12:13] offset:360
	ds_load_2addr_b32 v[5:6], v43 offset0:90 offset1:120
	s_wait_dscnt 0x0
	v_lshrrev_b32_e32 v8, 16, v5
	s_wait_loadcnt 0x0
	v_lshrrev_b32_e32 v9, 16, v7
	s_delay_alu instid0(VALU_DEP_1) | instskip(SKIP_1) | instid1(VALU_DEP_2)
	v_mul_f16_e32 v10, v8, v9
	v_mul_f16_e32 v9, v5, v9
	v_fmac_f16_e32 v10, v5, v7
	s_delay_alu instid0(VALU_DEP_2) | instskip(NEXT) | instid1(VALU_DEP_2)
	v_fma_f16 v5, v7, v8, -v9
	v_cvt_f32_f16_e32 v7, v10
	s_delay_alu instid0(VALU_DEP_2) | instskip(NEXT) | instid1(VALU_DEP_2)
	v_cvt_f32_f16_e32 v5, v5
	v_cvt_f64_f32_e32 v[7:8], v7
	s_delay_alu instid0(VALU_DEP_2) | instskip(NEXT) | instid1(VALU_DEP_2)
	v_cvt_f64_f32_e32 v[9:10], v5
	v_mul_f64_e32 v[7:8], s[8:9], v[7:8]
	s_delay_alu instid0(VALU_DEP_2) | instskip(NEXT) | instid1(VALU_DEP_2)
	v_mul_f64_e32 v[9:10], s[8:9], v[9:10]
	v_and_or_b32 v5, 0x1ff, v8, v7
	s_delay_alu instid0(VALU_DEP_2)
	v_and_or_b32 v9, 0x1ff, v10, v9
	v_lshrrev_b32_e32 v7, 8, v8
	v_bfe_u32 v11, v8, 20, 11
	v_lshrrev_b32_e32 v12, 8, v10
	v_cmp_ne_u32_e32 vcc_lo, 0, v5
	v_bfe_u32 v13, v10, 20, 11
	v_lshrrev_b32_e32 v8, 16, v8
	v_sub_nc_u32_e32 v14, 0x3f1, v11
	v_add_nc_u32_e32 v11, 0xfffffc10, v11
	s_wait_alu 0xfffd
	v_cndmask_b32_e64 v5, 0, 1, vcc_lo
	v_cmp_ne_u32_e32 vcc_lo, 0, v9
	v_lshrrev_b32_e32 v10, 16, v10
	s_delay_alu instid0(VALU_DEP_3) | instskip(SKIP_4) | instid1(VALU_DEP_3)
	v_and_or_b32 v5, 0xffe, v7, v5
	s_wait_alu 0xfffd
	v_cndmask_b32_e64 v9, 0, 1, vcc_lo
	v_sub_nc_u32_e32 v7, 0x3f1, v13
	v_add_nc_u32_e32 v13, 0xfffffc10, v13
	v_and_or_b32 v9, 0xffe, v12, v9
	v_med3_i32 v12, v14, 0, 13
	v_or_b32_e32 v14, 0x1000, v5
	v_med3_i32 v7, v7, 0, 13
	s_delay_alu instid0(VALU_DEP_4) | instskip(NEXT) | instid1(VALU_DEP_3)
	v_or_b32_e32 v15, 0x1000, v9
	v_lshrrev_b32_e32 v16, v12, v14
	s_delay_alu instid0(VALU_DEP_2) | instskip(NEXT) | instid1(VALU_DEP_2)
	v_lshrrev_b32_e32 v17, v7, v15
	v_lshlrev_b32_e32 v12, v12, v16
	s_delay_alu instid0(VALU_DEP_2) | instskip(NEXT) | instid1(VALU_DEP_2)
	v_lshlrev_b32_e32 v7, v7, v17
	v_cmp_ne_u32_e32 vcc_lo, v12, v14
	v_lshl_or_b32 v14, v11, 12, v5
	s_wait_alu 0xfffd
	v_cndmask_b32_e64 v12, 0, 1, vcc_lo
	v_cmp_ne_u32_e32 vcc_lo, v7, v15
	v_lshl_or_b32 v15, v13, 12, v9
	s_delay_alu instid0(VALU_DEP_3) | instskip(SKIP_3) | instid1(VALU_DEP_2)
	v_or_b32_e32 v12, v16, v12
	s_wait_alu 0xfffd
	v_cndmask_b32_e64 v7, 0, 1, vcc_lo
	v_cmp_gt_i32_e32 vcc_lo, 1, v11
	v_or_b32_e32 v7, v17, v7
	s_wait_alu 0xfffd
	v_cndmask_b32_e32 v12, v14, v12, vcc_lo
	v_cmp_gt_i32_e32 vcc_lo, 1, v13
	s_wait_alu 0xfffd
	s_delay_alu instid0(VALU_DEP_2) | instskip(SKIP_2) | instid1(VALU_DEP_3)
	v_dual_cndmask_b32 v7, v15, v7 :: v_dual_and_b32 v14, 7, v12
	v_cmp_ne_u32_e32 vcc_lo, 0, v5
	v_lshrrev_b32_e32 v12, 2, v12
	v_cmp_eq_u32_e64 s0, 3, v14
	s_delay_alu instid0(VALU_DEP_4)
	v_and_b32_e32 v15, 7, v7
	s_wait_alu 0xfffd
	v_cndmask_b32_e64 v5, 0, 1, vcc_lo
	v_cmp_ne_u32_e32 vcc_lo, 0, v9
	v_lshrrev_b32_e32 v7, 2, v7
	v_cmp_lt_i32_e64 s1, 5, v15
	v_cmp_eq_u32_e64 s2, 3, v15
	s_wait_alu 0xfffd
	v_cndmask_b32_e64 v9, 0, 1, vcc_lo
	v_cmp_lt_i32_e32 vcc_lo, 5, v14
	v_lshl_or_b32 v5, v5, 9, 0x7c00
	s_delay_alu instid0(VALU_DEP_3)
	v_lshl_or_b32 v9, v9, 9, 0x7c00
	s_or_b32 vcc_lo, s0, vcc_lo
	s_wait_alu 0xfffe
	v_add_co_ci_u32_e32 v12, vcc_lo, 0, v12, vcc_lo
	s_or_b32 vcc_lo, s2, s1
	s_wait_alu 0xfffe
	v_add_co_ci_u32_e32 v7, vcc_lo, 0, v7, vcc_lo
	v_cmp_gt_i32_e32 vcc_lo, 31, v11
	s_wait_alu 0xfffd
	v_cndmask_b32_e32 v12, 0x7c00, v12, vcc_lo
	v_cmp_gt_i32_e32 vcc_lo, 31, v13
	s_wait_alu 0xfffd
	v_cndmask_b32_e32 v7, 0x7c00, v7, vcc_lo
	v_cmp_eq_u32_e32 vcc_lo, 0x40f, v11
	s_wait_alu 0xfffd
	v_cndmask_b32_e32 v5, v12, v5, vcc_lo
	v_cmp_eq_u32_e32 vcc_lo, 0x40f, v13
	s_delay_alu instid0(VALU_DEP_2)
	v_and_or_b32 v5, 0x8000, v8, v5
	s_wait_alu 0xfffd
	v_cndmask_b32_e32 v7, v7, v9, vcc_lo
	v_add_co_u32 v3, vcc_lo, v3, s6
	s_wait_alu 0xfffd
	v_add_co_ci_u32_e32 v4, vcc_lo, s7, v4, vcc_lo
	s_delay_alu instid0(VALU_DEP_3) | instskip(SKIP_1) | instid1(VALU_DEP_1)
	v_and_or_b32 v7, 0x8000, v10, v7
	v_and_b32_e32 v5, 0xffff, v5
	v_lshl_or_b32 v5, v7, 16, v5
	v_lshrrev_b32_e32 v7, 16, v6
	global_store_b32 v[3:4], v5, off
	global_load_b32 v5, v40, s[12:13] offset:480
	s_wait_loadcnt 0x0
	v_lshrrev_b32_e32 v8, 16, v5
	s_delay_alu instid0(VALU_DEP_1) | instskip(SKIP_1) | instid1(VALU_DEP_2)
	v_mul_f16_e32 v9, v7, v8
	v_mul_f16_e32 v8, v6, v8
	v_fmac_f16_e32 v9, v6, v5
	s_delay_alu instid0(VALU_DEP_2) | instskip(NEXT) | instid1(VALU_DEP_2)
	v_fma_f16 v5, v5, v7, -v8
	v_cvt_f32_f16_e32 v6, v9
	s_delay_alu instid0(VALU_DEP_2) | instskip(NEXT) | instid1(VALU_DEP_2)
	v_cvt_f32_f16_e32 v7, v5
	v_cvt_f64_f32_e32 v[5:6], v6
	s_delay_alu instid0(VALU_DEP_2) | instskip(NEXT) | instid1(VALU_DEP_2)
	v_cvt_f64_f32_e32 v[7:8], v7
	v_mul_f64_e32 v[5:6], s[8:9], v[5:6]
	s_delay_alu instid0(VALU_DEP_2) | instskip(NEXT) | instid1(VALU_DEP_2)
	v_mul_f64_e32 v[7:8], s[8:9], v[7:8]
	v_and_or_b32 v5, 0x1ff, v6, v5
	s_delay_alu instid0(VALU_DEP_2)
	v_and_or_b32 v7, 0x1ff, v8, v7
	v_lshrrev_b32_e32 v9, 8, v6
	v_bfe_u32 v10, v6, 20, 11
	v_lshrrev_b32_e32 v11, 8, v8
	v_cmp_ne_u32_e32 vcc_lo, 0, v5
	v_bfe_u32 v12, v8, 20, 11
	v_lshrrev_b32_e32 v6, 16, v6
	v_sub_nc_u32_e32 v13, 0x3f1, v10
	v_add_nc_u32_e32 v10, 0xfffffc10, v10
	s_wait_alu 0xfffd
	v_cndmask_b32_e64 v5, 0, 1, vcc_lo
	v_cmp_ne_u32_e32 vcc_lo, 0, v7
	v_lshrrev_b32_e32 v8, 16, v8
	s_delay_alu instid0(VALU_DEP_3) | instskip(SKIP_4) | instid1(VALU_DEP_3)
	v_and_or_b32 v5, 0xffe, v9, v5
	s_wait_alu 0xfffd
	v_cndmask_b32_e64 v7, 0, 1, vcc_lo
	v_sub_nc_u32_e32 v9, 0x3f1, v12
	v_add_nc_u32_e32 v12, 0xfffffc10, v12
	v_and_or_b32 v7, 0xffe, v11, v7
	v_med3_i32 v11, v13, 0, 13
	v_or_b32_e32 v13, 0x1000, v5
	v_med3_i32 v9, v9, 0, 13
	s_delay_alu instid0(VALU_DEP_4) | instskip(NEXT) | instid1(VALU_DEP_3)
	v_or_b32_e32 v14, 0x1000, v7
	v_lshrrev_b32_e32 v15, v11, v13
	s_delay_alu instid0(VALU_DEP_2) | instskip(NEXT) | instid1(VALU_DEP_2)
	v_lshrrev_b32_e32 v16, v9, v14
	v_lshlrev_b32_e32 v11, v11, v15
	s_delay_alu instid0(VALU_DEP_2) | instskip(NEXT) | instid1(VALU_DEP_2)
	v_lshlrev_b32_e32 v9, v9, v16
	v_cmp_ne_u32_e32 vcc_lo, v11, v13
	v_lshl_or_b32 v13, v10, 12, v5
	s_wait_alu 0xfffd
	v_cndmask_b32_e64 v11, 0, 1, vcc_lo
	v_cmp_ne_u32_e32 vcc_lo, v9, v14
	v_lshl_or_b32 v14, v12, 12, v7
	s_delay_alu instid0(VALU_DEP_3) | instskip(SKIP_3) | instid1(VALU_DEP_2)
	v_or_b32_e32 v11, v15, v11
	s_wait_alu 0xfffd
	v_cndmask_b32_e64 v9, 0, 1, vcc_lo
	v_cmp_gt_i32_e32 vcc_lo, 1, v10
	v_or_b32_e32 v9, v16, v9
	s_wait_alu 0xfffd
	v_cndmask_b32_e32 v11, v13, v11, vcc_lo
	v_cmp_gt_i32_e32 vcc_lo, 1, v12
	s_delay_alu instid0(VALU_DEP_2)
	v_and_b32_e32 v13, 7, v11
	s_wait_alu 0xfffd
	v_cndmask_b32_e32 v9, v14, v9, vcc_lo
	v_cmp_ne_u32_e32 vcc_lo, 0, v5
	v_lshrrev_b32_e32 v11, 2, v11
	v_cmp_eq_u32_e64 s0, 3, v13
	s_delay_alu instid0(VALU_DEP_4)
	v_and_b32_e32 v14, 7, v9
	s_wait_alu 0xfffd
	v_cndmask_b32_e64 v5, 0, 1, vcc_lo
	v_cmp_ne_u32_e32 vcc_lo, 0, v7
	v_lshrrev_b32_e32 v9, 2, v9
	v_cmp_lt_i32_e64 s1, 5, v14
	v_cmp_eq_u32_e64 s2, 3, v14
	s_wait_alu 0xfffd
	v_cndmask_b32_e64 v7, 0, 1, vcc_lo
	v_cmp_lt_i32_e32 vcc_lo, 5, v13
	v_lshl_or_b32 v5, v5, 9, 0x7c00
	s_delay_alu instid0(VALU_DEP_3)
	v_lshl_or_b32 v7, v7, 9, 0x7c00
	s_or_b32 vcc_lo, s0, vcc_lo
	s_wait_alu 0xfffe
	v_add_co_ci_u32_e32 v11, vcc_lo, 0, v11, vcc_lo
	s_or_b32 vcc_lo, s2, s1
	s_wait_alu 0xfffe
	v_add_co_ci_u32_e32 v9, vcc_lo, 0, v9, vcc_lo
	v_cmp_gt_i32_e32 vcc_lo, 31, v10
	s_wait_alu 0xfffd
	v_cndmask_b32_e32 v11, 0x7c00, v11, vcc_lo
	v_cmp_gt_i32_e32 vcc_lo, 31, v12
	s_wait_alu 0xfffd
	v_cndmask_b32_e32 v9, 0x7c00, v9, vcc_lo
	v_cmp_eq_u32_e32 vcc_lo, 0x40f, v10
	s_wait_alu 0xfffd
	v_cndmask_b32_e32 v5, v11, v5, vcc_lo
	v_cmp_eq_u32_e32 vcc_lo, 0x40f, v12
	s_delay_alu instid0(VALU_DEP_2)
	v_and_or_b32 v5, 0x8000, v6, v5
	s_wait_alu 0xfffd
	v_cndmask_b32_e32 v7, v9, v7, vcc_lo
	v_add_co_u32 v3, vcc_lo, v3, s6
	s_wait_alu 0xfffd
	v_add_co_ci_u32_e32 v4, vcc_lo, s7, v4, vcc_lo
	s_delay_alu instid0(VALU_DEP_3) | instskip(SKIP_1) | instid1(VALU_DEP_1)
	v_and_or_b32 v6, 0x8000, v8, v7
	v_and_b32_e32 v5, 0xffff, v5
	v_lshl_or_b32 v5, v6, 16, v5
	global_store_b32 v[3:4], v5, off
	global_load_b32 v7, v40, s[12:13] offset:600
	ds_load_2addr_b32 v[5:6], v43 offset0:150 offset1:180
	s_wait_dscnt 0x0
	v_lshrrev_b32_e32 v8, 16, v5
	s_wait_loadcnt 0x0
	v_lshrrev_b32_e32 v9, 16, v7
	s_delay_alu instid0(VALU_DEP_1) | instskip(SKIP_1) | instid1(VALU_DEP_2)
	v_mul_f16_e32 v10, v8, v9
	v_mul_f16_e32 v9, v5, v9
	v_fmac_f16_e32 v10, v5, v7
	s_delay_alu instid0(VALU_DEP_2) | instskip(NEXT) | instid1(VALU_DEP_2)
	v_fma_f16 v5, v7, v8, -v9
	v_cvt_f32_f16_e32 v7, v10
	s_delay_alu instid0(VALU_DEP_2) | instskip(NEXT) | instid1(VALU_DEP_2)
	v_cvt_f32_f16_e32 v5, v5
	v_cvt_f64_f32_e32 v[7:8], v7
	s_delay_alu instid0(VALU_DEP_2) | instskip(NEXT) | instid1(VALU_DEP_2)
	v_cvt_f64_f32_e32 v[9:10], v5
	v_mul_f64_e32 v[7:8], s[8:9], v[7:8]
	s_delay_alu instid0(VALU_DEP_2) | instskip(NEXT) | instid1(VALU_DEP_2)
	v_mul_f64_e32 v[9:10], s[8:9], v[9:10]
	v_and_or_b32 v5, 0x1ff, v8, v7
	s_delay_alu instid0(VALU_DEP_2)
	v_and_or_b32 v9, 0x1ff, v10, v9
	v_lshrrev_b32_e32 v7, 8, v8
	v_bfe_u32 v11, v8, 20, 11
	v_lshrrev_b32_e32 v12, 8, v10
	v_cmp_ne_u32_e32 vcc_lo, 0, v5
	v_bfe_u32 v13, v10, 20, 11
	v_lshrrev_b32_e32 v8, 16, v8
	v_sub_nc_u32_e32 v14, 0x3f1, v11
	v_add_nc_u32_e32 v11, 0xfffffc10, v11
	s_wait_alu 0xfffd
	v_cndmask_b32_e64 v5, 0, 1, vcc_lo
	v_cmp_ne_u32_e32 vcc_lo, 0, v9
	v_lshrrev_b32_e32 v10, 16, v10
	s_delay_alu instid0(VALU_DEP_3) | instskip(SKIP_4) | instid1(VALU_DEP_3)
	v_and_or_b32 v5, 0xffe, v7, v5
	s_wait_alu 0xfffd
	v_cndmask_b32_e64 v9, 0, 1, vcc_lo
	v_sub_nc_u32_e32 v7, 0x3f1, v13
	v_add_nc_u32_e32 v13, 0xfffffc10, v13
	v_and_or_b32 v9, 0xffe, v12, v9
	v_med3_i32 v12, v14, 0, 13
	v_or_b32_e32 v14, 0x1000, v5
	v_med3_i32 v7, v7, 0, 13
	s_delay_alu instid0(VALU_DEP_4) | instskip(NEXT) | instid1(VALU_DEP_3)
	v_or_b32_e32 v15, 0x1000, v9
	v_lshrrev_b32_e32 v16, v12, v14
	s_delay_alu instid0(VALU_DEP_2) | instskip(NEXT) | instid1(VALU_DEP_2)
	v_lshrrev_b32_e32 v17, v7, v15
	v_lshlrev_b32_e32 v12, v12, v16
	s_delay_alu instid0(VALU_DEP_2) | instskip(NEXT) | instid1(VALU_DEP_2)
	v_lshlrev_b32_e32 v7, v7, v17
	v_cmp_ne_u32_e32 vcc_lo, v12, v14
	v_lshl_or_b32 v14, v11, 12, v5
	s_wait_alu 0xfffd
	v_cndmask_b32_e64 v12, 0, 1, vcc_lo
	v_cmp_ne_u32_e32 vcc_lo, v7, v15
	v_lshl_or_b32 v15, v13, 12, v9
	s_delay_alu instid0(VALU_DEP_3) | instskip(SKIP_3) | instid1(VALU_DEP_2)
	v_or_b32_e32 v12, v16, v12
	s_wait_alu 0xfffd
	v_cndmask_b32_e64 v7, 0, 1, vcc_lo
	v_cmp_gt_i32_e32 vcc_lo, 1, v11
	v_or_b32_e32 v7, v17, v7
	s_wait_alu 0xfffd
	v_cndmask_b32_e32 v12, v14, v12, vcc_lo
	v_cmp_gt_i32_e32 vcc_lo, 1, v13
	s_wait_alu 0xfffd
	s_delay_alu instid0(VALU_DEP_2) | instskip(SKIP_2) | instid1(VALU_DEP_3)
	v_dual_cndmask_b32 v7, v15, v7 :: v_dual_and_b32 v14, 7, v12
	v_cmp_ne_u32_e32 vcc_lo, 0, v5
	v_lshrrev_b32_e32 v12, 2, v12
	v_cmp_eq_u32_e64 s0, 3, v14
	s_delay_alu instid0(VALU_DEP_4)
	v_and_b32_e32 v15, 7, v7
	s_wait_alu 0xfffd
	v_cndmask_b32_e64 v5, 0, 1, vcc_lo
	v_cmp_ne_u32_e32 vcc_lo, 0, v9
	v_lshrrev_b32_e32 v7, 2, v7
	v_cmp_lt_i32_e64 s1, 5, v15
	v_cmp_eq_u32_e64 s2, 3, v15
	s_wait_alu 0xfffd
	v_cndmask_b32_e64 v9, 0, 1, vcc_lo
	v_cmp_lt_i32_e32 vcc_lo, 5, v14
	v_lshl_or_b32 v5, v5, 9, 0x7c00
	s_delay_alu instid0(VALU_DEP_3)
	v_lshl_or_b32 v9, v9, 9, 0x7c00
	s_or_b32 vcc_lo, s0, vcc_lo
	s_wait_alu 0xfffe
	v_add_co_ci_u32_e32 v12, vcc_lo, 0, v12, vcc_lo
	s_or_b32 vcc_lo, s2, s1
	s_wait_alu 0xfffe
	v_add_co_ci_u32_e32 v7, vcc_lo, 0, v7, vcc_lo
	v_cmp_gt_i32_e32 vcc_lo, 31, v11
	s_wait_alu 0xfffd
	v_cndmask_b32_e32 v12, 0x7c00, v12, vcc_lo
	v_cmp_gt_i32_e32 vcc_lo, 31, v13
	s_wait_alu 0xfffd
	v_cndmask_b32_e32 v7, 0x7c00, v7, vcc_lo
	v_cmp_eq_u32_e32 vcc_lo, 0x40f, v11
	s_wait_alu 0xfffd
	v_cndmask_b32_e32 v5, v12, v5, vcc_lo
	v_cmp_eq_u32_e32 vcc_lo, 0x40f, v13
	s_delay_alu instid0(VALU_DEP_2)
	v_and_or_b32 v5, 0x8000, v8, v5
	s_wait_alu 0xfffd
	v_cndmask_b32_e32 v7, v7, v9, vcc_lo
	v_add_co_u32 v3, vcc_lo, v3, s6
	s_wait_alu 0xfffd
	v_add_co_ci_u32_e32 v4, vcc_lo, s7, v4, vcc_lo
	s_delay_alu instid0(VALU_DEP_3) | instskip(SKIP_1) | instid1(VALU_DEP_1)
	v_and_or_b32 v7, 0x8000, v10, v7
	v_and_b32_e32 v5, 0xffff, v5
	v_lshl_or_b32 v5, v7, 16, v5
	v_lshrrev_b32_e32 v7, 16, v6
	global_store_b32 v[3:4], v5, off
	global_load_b32 v5, v40, s[12:13] offset:720
	s_wait_loadcnt 0x0
	v_lshrrev_b32_e32 v8, 16, v5
	s_delay_alu instid0(VALU_DEP_1) | instskip(SKIP_1) | instid1(VALU_DEP_2)
	v_mul_f16_e32 v9, v7, v8
	v_mul_f16_e32 v8, v6, v8
	v_fmac_f16_e32 v9, v6, v5
	s_delay_alu instid0(VALU_DEP_2) | instskip(NEXT) | instid1(VALU_DEP_2)
	v_fma_f16 v5, v5, v7, -v8
	v_cvt_f32_f16_e32 v6, v9
	s_delay_alu instid0(VALU_DEP_2) | instskip(NEXT) | instid1(VALU_DEP_2)
	v_cvt_f32_f16_e32 v7, v5
	v_cvt_f64_f32_e32 v[5:6], v6
	s_delay_alu instid0(VALU_DEP_2) | instskip(NEXT) | instid1(VALU_DEP_2)
	v_cvt_f64_f32_e32 v[7:8], v7
	v_mul_f64_e32 v[5:6], s[8:9], v[5:6]
	s_delay_alu instid0(VALU_DEP_2) | instskip(NEXT) | instid1(VALU_DEP_2)
	v_mul_f64_e32 v[7:8], s[8:9], v[7:8]
	v_and_or_b32 v5, 0x1ff, v6, v5
	s_delay_alu instid0(VALU_DEP_2)
	v_and_or_b32 v7, 0x1ff, v8, v7
	v_lshrrev_b32_e32 v9, 8, v6
	v_bfe_u32 v10, v6, 20, 11
	v_lshrrev_b32_e32 v11, 8, v8
	v_cmp_ne_u32_e32 vcc_lo, 0, v5
	v_bfe_u32 v12, v8, 20, 11
	v_lshrrev_b32_e32 v6, 16, v6
	v_sub_nc_u32_e32 v13, 0x3f1, v10
	v_add_nc_u32_e32 v10, 0xfffffc10, v10
	s_wait_alu 0xfffd
	v_cndmask_b32_e64 v5, 0, 1, vcc_lo
	v_cmp_ne_u32_e32 vcc_lo, 0, v7
	v_lshrrev_b32_e32 v8, 16, v8
	s_delay_alu instid0(VALU_DEP_3) | instskip(SKIP_4) | instid1(VALU_DEP_3)
	v_and_or_b32 v5, 0xffe, v9, v5
	s_wait_alu 0xfffd
	v_cndmask_b32_e64 v7, 0, 1, vcc_lo
	v_sub_nc_u32_e32 v9, 0x3f1, v12
	v_add_nc_u32_e32 v12, 0xfffffc10, v12
	v_and_or_b32 v7, 0xffe, v11, v7
	v_med3_i32 v11, v13, 0, 13
	v_or_b32_e32 v13, 0x1000, v5
	v_med3_i32 v9, v9, 0, 13
	s_delay_alu instid0(VALU_DEP_4) | instskip(NEXT) | instid1(VALU_DEP_3)
	v_or_b32_e32 v14, 0x1000, v7
	v_lshrrev_b32_e32 v15, v11, v13
	s_delay_alu instid0(VALU_DEP_2) | instskip(NEXT) | instid1(VALU_DEP_2)
	v_lshrrev_b32_e32 v16, v9, v14
	v_lshlrev_b32_e32 v11, v11, v15
	s_delay_alu instid0(VALU_DEP_2) | instskip(NEXT) | instid1(VALU_DEP_2)
	v_lshlrev_b32_e32 v9, v9, v16
	v_cmp_ne_u32_e32 vcc_lo, v11, v13
	v_lshl_or_b32 v13, v10, 12, v5
	s_wait_alu 0xfffd
	v_cndmask_b32_e64 v11, 0, 1, vcc_lo
	v_cmp_ne_u32_e32 vcc_lo, v9, v14
	v_lshl_or_b32 v14, v12, 12, v7
	s_delay_alu instid0(VALU_DEP_3) | instskip(SKIP_3) | instid1(VALU_DEP_2)
	v_or_b32_e32 v11, v15, v11
	s_wait_alu 0xfffd
	v_cndmask_b32_e64 v9, 0, 1, vcc_lo
	v_cmp_gt_i32_e32 vcc_lo, 1, v10
	v_or_b32_e32 v9, v16, v9
	s_wait_alu 0xfffd
	v_cndmask_b32_e32 v11, v13, v11, vcc_lo
	v_cmp_gt_i32_e32 vcc_lo, 1, v12
	s_delay_alu instid0(VALU_DEP_2)
	v_and_b32_e32 v13, 7, v11
	s_wait_alu 0xfffd
	v_cndmask_b32_e32 v9, v14, v9, vcc_lo
	v_cmp_ne_u32_e32 vcc_lo, 0, v5
	v_lshrrev_b32_e32 v11, 2, v11
	v_cmp_eq_u32_e64 s0, 3, v13
	s_delay_alu instid0(VALU_DEP_4)
	v_and_b32_e32 v14, 7, v9
	s_wait_alu 0xfffd
	v_cndmask_b32_e64 v5, 0, 1, vcc_lo
	v_cmp_ne_u32_e32 vcc_lo, 0, v7
	v_lshrrev_b32_e32 v9, 2, v9
	v_cmp_lt_i32_e64 s1, 5, v14
	v_cmp_eq_u32_e64 s2, 3, v14
	s_wait_alu 0xfffd
	v_cndmask_b32_e64 v7, 0, 1, vcc_lo
	v_cmp_lt_i32_e32 vcc_lo, 5, v13
	v_lshl_or_b32 v5, v5, 9, 0x7c00
	s_delay_alu instid0(VALU_DEP_3)
	v_lshl_or_b32 v7, v7, 9, 0x7c00
	s_or_b32 vcc_lo, s0, vcc_lo
	s_wait_alu 0xfffe
	v_add_co_ci_u32_e32 v11, vcc_lo, 0, v11, vcc_lo
	s_or_b32 vcc_lo, s2, s1
	s_wait_alu 0xfffe
	v_add_co_ci_u32_e32 v9, vcc_lo, 0, v9, vcc_lo
	v_cmp_gt_i32_e32 vcc_lo, 31, v10
	s_wait_alu 0xfffd
	v_cndmask_b32_e32 v11, 0x7c00, v11, vcc_lo
	v_cmp_gt_i32_e32 vcc_lo, 31, v12
	s_wait_alu 0xfffd
	v_cndmask_b32_e32 v9, 0x7c00, v9, vcc_lo
	v_cmp_eq_u32_e32 vcc_lo, 0x40f, v10
	s_wait_alu 0xfffd
	v_cndmask_b32_e32 v5, v11, v5, vcc_lo
	v_cmp_eq_u32_e32 vcc_lo, 0x40f, v12
	s_delay_alu instid0(VALU_DEP_2)
	v_and_or_b32 v5, 0x8000, v6, v5
	s_wait_alu 0xfffd
	v_cndmask_b32_e32 v7, v9, v7, vcc_lo
	v_add_co_u32 v3, vcc_lo, v3, s6
	s_wait_alu 0xfffd
	v_add_co_ci_u32_e32 v4, vcc_lo, s7, v4, vcc_lo
	s_delay_alu instid0(VALU_DEP_3) | instskip(SKIP_1) | instid1(VALU_DEP_1)
	v_and_or_b32 v6, 0x8000, v8, v7
	v_and_b32_e32 v5, 0xffff, v5
	v_lshl_or_b32 v5, v6, 16, v5
	global_store_b32 v[3:4], v5, off
	global_load_b32 v7, v40, s[12:13] offset:840
	ds_load_2addr_b32 v[5:6], v43 offset0:210 offset1:240
	s_wait_dscnt 0x0
	v_lshrrev_b32_e32 v8, 16, v5
	s_wait_loadcnt 0x0
	v_lshrrev_b32_e32 v9, 16, v7
	s_delay_alu instid0(VALU_DEP_1) | instskip(SKIP_1) | instid1(VALU_DEP_2)
	v_mul_f16_e32 v10, v8, v9
	v_mul_f16_e32 v9, v5, v9
	v_fmac_f16_e32 v10, v5, v7
	s_delay_alu instid0(VALU_DEP_2) | instskip(NEXT) | instid1(VALU_DEP_2)
	v_fma_f16 v5, v7, v8, -v9
	v_cvt_f32_f16_e32 v7, v10
	s_delay_alu instid0(VALU_DEP_2) | instskip(NEXT) | instid1(VALU_DEP_2)
	v_cvt_f32_f16_e32 v5, v5
	v_cvt_f64_f32_e32 v[7:8], v7
	s_delay_alu instid0(VALU_DEP_2) | instskip(NEXT) | instid1(VALU_DEP_2)
	v_cvt_f64_f32_e32 v[9:10], v5
	v_mul_f64_e32 v[7:8], s[8:9], v[7:8]
	s_delay_alu instid0(VALU_DEP_2) | instskip(NEXT) | instid1(VALU_DEP_2)
	v_mul_f64_e32 v[9:10], s[8:9], v[9:10]
	v_and_or_b32 v5, 0x1ff, v8, v7
	s_delay_alu instid0(VALU_DEP_2)
	v_and_or_b32 v9, 0x1ff, v10, v9
	v_lshrrev_b32_e32 v7, 8, v8
	v_bfe_u32 v11, v8, 20, 11
	v_lshrrev_b32_e32 v12, 8, v10
	v_cmp_ne_u32_e32 vcc_lo, 0, v5
	v_bfe_u32 v13, v10, 20, 11
	v_lshrrev_b32_e32 v8, 16, v8
	v_sub_nc_u32_e32 v14, 0x3f1, v11
	v_add_nc_u32_e32 v11, 0xfffffc10, v11
	s_wait_alu 0xfffd
	v_cndmask_b32_e64 v5, 0, 1, vcc_lo
	v_cmp_ne_u32_e32 vcc_lo, 0, v9
	v_lshrrev_b32_e32 v10, 16, v10
	s_delay_alu instid0(VALU_DEP_3) | instskip(SKIP_4) | instid1(VALU_DEP_3)
	v_and_or_b32 v5, 0xffe, v7, v5
	s_wait_alu 0xfffd
	v_cndmask_b32_e64 v9, 0, 1, vcc_lo
	v_sub_nc_u32_e32 v7, 0x3f1, v13
	v_add_nc_u32_e32 v13, 0xfffffc10, v13
	v_and_or_b32 v9, 0xffe, v12, v9
	v_med3_i32 v12, v14, 0, 13
	v_or_b32_e32 v14, 0x1000, v5
	v_med3_i32 v7, v7, 0, 13
	s_delay_alu instid0(VALU_DEP_4) | instskip(NEXT) | instid1(VALU_DEP_3)
	v_or_b32_e32 v15, 0x1000, v9
	v_lshrrev_b32_e32 v16, v12, v14
	s_delay_alu instid0(VALU_DEP_2) | instskip(NEXT) | instid1(VALU_DEP_2)
	v_lshrrev_b32_e32 v17, v7, v15
	v_lshlrev_b32_e32 v12, v12, v16
	s_delay_alu instid0(VALU_DEP_2) | instskip(NEXT) | instid1(VALU_DEP_2)
	v_lshlrev_b32_e32 v7, v7, v17
	v_cmp_ne_u32_e32 vcc_lo, v12, v14
	v_lshl_or_b32 v14, v11, 12, v5
	s_wait_alu 0xfffd
	v_cndmask_b32_e64 v12, 0, 1, vcc_lo
	v_cmp_ne_u32_e32 vcc_lo, v7, v15
	v_lshl_or_b32 v15, v13, 12, v9
	s_delay_alu instid0(VALU_DEP_3) | instskip(SKIP_3) | instid1(VALU_DEP_2)
	v_or_b32_e32 v12, v16, v12
	s_wait_alu 0xfffd
	v_cndmask_b32_e64 v7, 0, 1, vcc_lo
	v_cmp_gt_i32_e32 vcc_lo, 1, v11
	v_or_b32_e32 v7, v17, v7
	s_wait_alu 0xfffd
	v_cndmask_b32_e32 v12, v14, v12, vcc_lo
	v_cmp_gt_i32_e32 vcc_lo, 1, v13
	s_wait_alu 0xfffd
	s_delay_alu instid0(VALU_DEP_2) | instskip(SKIP_2) | instid1(VALU_DEP_3)
	v_dual_cndmask_b32 v7, v15, v7 :: v_dual_and_b32 v14, 7, v12
	v_cmp_ne_u32_e32 vcc_lo, 0, v5
	v_lshrrev_b32_e32 v12, 2, v12
	v_cmp_eq_u32_e64 s0, 3, v14
	s_delay_alu instid0(VALU_DEP_4)
	v_and_b32_e32 v15, 7, v7
	s_wait_alu 0xfffd
	v_cndmask_b32_e64 v5, 0, 1, vcc_lo
	v_cmp_ne_u32_e32 vcc_lo, 0, v9
	v_lshrrev_b32_e32 v7, 2, v7
	v_cmp_lt_i32_e64 s1, 5, v15
	v_cmp_eq_u32_e64 s2, 3, v15
	s_wait_alu 0xfffd
	v_cndmask_b32_e64 v9, 0, 1, vcc_lo
	v_cmp_lt_i32_e32 vcc_lo, 5, v14
	v_lshl_or_b32 v5, v5, 9, 0x7c00
	s_delay_alu instid0(VALU_DEP_3)
	v_lshl_or_b32 v9, v9, 9, 0x7c00
	s_or_b32 vcc_lo, s0, vcc_lo
	s_wait_alu 0xfffe
	v_add_co_ci_u32_e32 v12, vcc_lo, 0, v12, vcc_lo
	s_or_b32 vcc_lo, s2, s1
	s_wait_alu 0xfffe
	v_add_co_ci_u32_e32 v7, vcc_lo, 0, v7, vcc_lo
	v_cmp_gt_i32_e32 vcc_lo, 31, v11
	s_wait_alu 0xfffd
	v_cndmask_b32_e32 v12, 0x7c00, v12, vcc_lo
	v_cmp_gt_i32_e32 vcc_lo, 31, v13
	s_wait_alu 0xfffd
	v_cndmask_b32_e32 v7, 0x7c00, v7, vcc_lo
	v_cmp_eq_u32_e32 vcc_lo, 0x40f, v11
	s_wait_alu 0xfffd
	v_cndmask_b32_e32 v5, v12, v5, vcc_lo
	v_cmp_eq_u32_e32 vcc_lo, 0x40f, v13
	s_delay_alu instid0(VALU_DEP_2)
	v_and_or_b32 v5, 0x8000, v8, v5
	s_wait_alu 0xfffd
	v_cndmask_b32_e32 v7, v7, v9, vcc_lo
	v_add_co_u32 v3, vcc_lo, v3, s6
	s_wait_alu 0xfffd
	v_add_co_ci_u32_e32 v4, vcc_lo, s7, v4, vcc_lo
	s_delay_alu instid0(VALU_DEP_3) | instskip(SKIP_1) | instid1(VALU_DEP_1)
	v_and_or_b32 v7, 0x8000, v10, v7
	v_and_b32_e32 v5, 0xffff, v5
	v_lshl_or_b32 v5, v7, 16, v5
	v_lshrrev_b32_e32 v7, 16, v6
	global_store_b32 v[3:4], v5, off
	global_load_b32 v5, v40, s[12:13] offset:960
	s_wait_loadcnt 0x0
	v_lshrrev_b32_e32 v8, 16, v5
	s_delay_alu instid0(VALU_DEP_1) | instskip(SKIP_1) | instid1(VALU_DEP_2)
	v_mul_f16_e32 v9, v7, v8
	v_mul_f16_e32 v8, v6, v8
	v_fmac_f16_e32 v9, v6, v5
	s_delay_alu instid0(VALU_DEP_2) | instskip(NEXT) | instid1(VALU_DEP_2)
	v_fma_f16 v5, v5, v7, -v8
	v_cvt_f32_f16_e32 v6, v9
	s_delay_alu instid0(VALU_DEP_2) | instskip(NEXT) | instid1(VALU_DEP_2)
	v_cvt_f32_f16_e32 v7, v5
	v_cvt_f64_f32_e32 v[5:6], v6
	s_delay_alu instid0(VALU_DEP_2) | instskip(NEXT) | instid1(VALU_DEP_2)
	v_cvt_f64_f32_e32 v[7:8], v7
	v_mul_f64_e32 v[5:6], s[8:9], v[5:6]
	s_delay_alu instid0(VALU_DEP_2) | instskip(NEXT) | instid1(VALU_DEP_2)
	v_mul_f64_e32 v[7:8], s[8:9], v[7:8]
	v_and_or_b32 v5, 0x1ff, v6, v5
	s_delay_alu instid0(VALU_DEP_2)
	v_and_or_b32 v7, 0x1ff, v8, v7
	v_lshrrev_b32_e32 v9, 8, v6
	v_bfe_u32 v10, v6, 20, 11
	v_lshrrev_b32_e32 v11, 8, v8
	v_cmp_ne_u32_e32 vcc_lo, 0, v5
	v_bfe_u32 v12, v8, 20, 11
	v_lshrrev_b32_e32 v6, 16, v6
	v_sub_nc_u32_e32 v13, 0x3f1, v10
	v_add_nc_u32_e32 v10, 0xfffffc10, v10
	s_wait_alu 0xfffd
	v_cndmask_b32_e64 v5, 0, 1, vcc_lo
	v_cmp_ne_u32_e32 vcc_lo, 0, v7
	v_lshrrev_b32_e32 v8, 16, v8
	s_delay_alu instid0(VALU_DEP_3) | instskip(SKIP_4) | instid1(VALU_DEP_3)
	v_and_or_b32 v5, 0xffe, v9, v5
	s_wait_alu 0xfffd
	v_cndmask_b32_e64 v7, 0, 1, vcc_lo
	v_sub_nc_u32_e32 v9, 0x3f1, v12
	v_add_nc_u32_e32 v12, 0xfffffc10, v12
	v_and_or_b32 v7, 0xffe, v11, v7
	v_med3_i32 v11, v13, 0, 13
	v_or_b32_e32 v13, 0x1000, v5
	v_med3_i32 v9, v9, 0, 13
	s_delay_alu instid0(VALU_DEP_4) | instskip(NEXT) | instid1(VALU_DEP_3)
	v_or_b32_e32 v14, 0x1000, v7
	v_lshrrev_b32_e32 v15, v11, v13
	s_delay_alu instid0(VALU_DEP_2) | instskip(NEXT) | instid1(VALU_DEP_2)
	v_lshrrev_b32_e32 v16, v9, v14
	v_lshlrev_b32_e32 v11, v11, v15
	s_delay_alu instid0(VALU_DEP_2) | instskip(NEXT) | instid1(VALU_DEP_2)
	v_lshlrev_b32_e32 v9, v9, v16
	v_cmp_ne_u32_e32 vcc_lo, v11, v13
	v_lshl_or_b32 v13, v10, 12, v5
	s_wait_alu 0xfffd
	v_cndmask_b32_e64 v11, 0, 1, vcc_lo
	v_cmp_ne_u32_e32 vcc_lo, v9, v14
	v_lshl_or_b32 v14, v12, 12, v7
	s_delay_alu instid0(VALU_DEP_3) | instskip(SKIP_3) | instid1(VALU_DEP_2)
	v_or_b32_e32 v11, v15, v11
	s_wait_alu 0xfffd
	v_cndmask_b32_e64 v9, 0, 1, vcc_lo
	v_cmp_gt_i32_e32 vcc_lo, 1, v10
	v_or_b32_e32 v9, v16, v9
	s_wait_alu 0xfffd
	v_cndmask_b32_e32 v11, v13, v11, vcc_lo
	v_cmp_gt_i32_e32 vcc_lo, 1, v12
	s_delay_alu instid0(VALU_DEP_2)
	v_and_b32_e32 v13, 7, v11
	s_wait_alu 0xfffd
	v_cndmask_b32_e32 v9, v14, v9, vcc_lo
	v_cmp_ne_u32_e32 vcc_lo, 0, v5
	v_lshrrev_b32_e32 v11, 2, v11
	v_cmp_eq_u32_e64 s0, 3, v13
	s_delay_alu instid0(VALU_DEP_4)
	v_and_b32_e32 v14, 7, v9
	s_wait_alu 0xfffd
	v_cndmask_b32_e64 v5, 0, 1, vcc_lo
	v_cmp_ne_u32_e32 vcc_lo, 0, v7
	v_lshrrev_b32_e32 v9, 2, v9
	v_cmp_lt_i32_e64 s1, 5, v14
	v_cmp_eq_u32_e64 s2, 3, v14
	s_wait_alu 0xfffd
	v_cndmask_b32_e64 v7, 0, 1, vcc_lo
	v_cmp_lt_i32_e32 vcc_lo, 5, v13
	v_lshl_or_b32 v5, v5, 9, 0x7c00
	s_delay_alu instid0(VALU_DEP_3)
	v_lshl_or_b32 v7, v7, 9, 0x7c00
	s_or_b32 vcc_lo, s0, vcc_lo
	s_wait_alu 0xfffe
	v_add_co_ci_u32_e32 v11, vcc_lo, 0, v11, vcc_lo
	s_or_b32 vcc_lo, s2, s1
	s_wait_alu 0xfffe
	v_add_co_ci_u32_e32 v9, vcc_lo, 0, v9, vcc_lo
	v_cmp_gt_i32_e32 vcc_lo, 31, v10
	s_wait_alu 0xfffd
	v_cndmask_b32_e32 v11, 0x7c00, v11, vcc_lo
	v_cmp_gt_i32_e32 vcc_lo, 31, v12
	s_wait_alu 0xfffd
	v_cndmask_b32_e32 v9, 0x7c00, v9, vcc_lo
	v_cmp_eq_u32_e32 vcc_lo, 0x40f, v10
	s_wait_alu 0xfffd
	v_cndmask_b32_e32 v5, v11, v5, vcc_lo
	v_cmp_eq_u32_e32 vcc_lo, 0x40f, v12
	s_delay_alu instid0(VALU_DEP_2)
	v_and_or_b32 v5, 0x8000, v6, v5
	s_wait_alu 0xfffd
	v_cndmask_b32_e32 v7, v9, v7, vcc_lo
	v_add_co_u32 v3, vcc_lo, v3, s6
	s_wait_alu 0xfffd
	v_add_co_ci_u32_e32 v4, vcc_lo, s7, v4, vcc_lo
	s_delay_alu instid0(VALU_DEP_3) | instskip(SKIP_1) | instid1(VALU_DEP_1)
	v_and_or_b32 v6, 0x8000, v8, v7
	v_and_b32_e32 v5, 0xffff, v5
	v_lshl_or_b32 v5, v6, 16, v5
	global_store_b32 v[3:4], v5, off
	global_load_b32 v7, v40, s[12:13] offset:1080
	ds_load_2addr_b32 v[5:6], v2 offset0:14 offset1:44
	s_wait_dscnt 0x0
	v_lshrrev_b32_e32 v8, 16, v5
	s_wait_loadcnt 0x0
	v_lshrrev_b32_e32 v9, 16, v7
	s_delay_alu instid0(VALU_DEP_1) | instskip(SKIP_1) | instid1(VALU_DEP_2)
	v_mul_f16_e32 v10, v8, v9
	v_mul_f16_e32 v9, v5, v9
	v_fmac_f16_e32 v10, v5, v7
	s_delay_alu instid0(VALU_DEP_2) | instskip(NEXT) | instid1(VALU_DEP_2)
	v_fma_f16 v5, v7, v8, -v9
	v_cvt_f32_f16_e32 v7, v10
	s_delay_alu instid0(VALU_DEP_2) | instskip(NEXT) | instid1(VALU_DEP_2)
	v_cvt_f32_f16_e32 v5, v5
	v_cvt_f64_f32_e32 v[7:8], v7
	s_delay_alu instid0(VALU_DEP_2) | instskip(NEXT) | instid1(VALU_DEP_2)
	v_cvt_f64_f32_e32 v[9:10], v5
	v_mul_f64_e32 v[7:8], s[8:9], v[7:8]
	s_delay_alu instid0(VALU_DEP_2) | instskip(NEXT) | instid1(VALU_DEP_2)
	v_mul_f64_e32 v[9:10], s[8:9], v[9:10]
	v_and_or_b32 v5, 0x1ff, v8, v7
	s_delay_alu instid0(VALU_DEP_2)
	v_and_or_b32 v9, 0x1ff, v10, v9
	v_lshrrev_b32_e32 v7, 8, v8
	v_bfe_u32 v11, v8, 20, 11
	v_lshrrev_b32_e32 v12, 8, v10
	v_cmp_ne_u32_e32 vcc_lo, 0, v5
	v_bfe_u32 v13, v10, 20, 11
	v_lshrrev_b32_e32 v8, 16, v8
	v_sub_nc_u32_e32 v14, 0x3f1, v11
	v_add_nc_u32_e32 v11, 0xfffffc10, v11
	s_wait_alu 0xfffd
	v_cndmask_b32_e64 v5, 0, 1, vcc_lo
	v_cmp_ne_u32_e32 vcc_lo, 0, v9
	v_lshrrev_b32_e32 v10, 16, v10
	s_delay_alu instid0(VALU_DEP_3) | instskip(SKIP_4) | instid1(VALU_DEP_3)
	v_and_or_b32 v5, 0xffe, v7, v5
	s_wait_alu 0xfffd
	v_cndmask_b32_e64 v9, 0, 1, vcc_lo
	v_sub_nc_u32_e32 v7, 0x3f1, v13
	v_add_nc_u32_e32 v13, 0xfffffc10, v13
	v_and_or_b32 v9, 0xffe, v12, v9
	v_med3_i32 v12, v14, 0, 13
	v_or_b32_e32 v14, 0x1000, v5
	v_med3_i32 v7, v7, 0, 13
	s_delay_alu instid0(VALU_DEP_4) | instskip(NEXT) | instid1(VALU_DEP_3)
	v_or_b32_e32 v15, 0x1000, v9
	v_lshrrev_b32_e32 v16, v12, v14
	s_delay_alu instid0(VALU_DEP_2) | instskip(NEXT) | instid1(VALU_DEP_2)
	v_lshrrev_b32_e32 v17, v7, v15
	v_lshlrev_b32_e32 v12, v12, v16
	s_delay_alu instid0(VALU_DEP_2) | instskip(NEXT) | instid1(VALU_DEP_2)
	v_lshlrev_b32_e32 v7, v7, v17
	v_cmp_ne_u32_e32 vcc_lo, v12, v14
	v_lshl_or_b32 v14, v11, 12, v5
	s_wait_alu 0xfffd
	v_cndmask_b32_e64 v12, 0, 1, vcc_lo
	v_cmp_ne_u32_e32 vcc_lo, v7, v15
	v_lshl_or_b32 v15, v13, 12, v9
	s_delay_alu instid0(VALU_DEP_3) | instskip(SKIP_3) | instid1(VALU_DEP_2)
	v_or_b32_e32 v12, v16, v12
	s_wait_alu 0xfffd
	v_cndmask_b32_e64 v7, 0, 1, vcc_lo
	v_cmp_gt_i32_e32 vcc_lo, 1, v11
	v_or_b32_e32 v7, v17, v7
	s_wait_alu 0xfffd
	v_cndmask_b32_e32 v12, v14, v12, vcc_lo
	v_cmp_gt_i32_e32 vcc_lo, 1, v13
	s_wait_alu 0xfffd
	s_delay_alu instid0(VALU_DEP_2) | instskip(SKIP_2) | instid1(VALU_DEP_3)
	v_dual_cndmask_b32 v7, v15, v7 :: v_dual_and_b32 v14, 7, v12
	v_cmp_ne_u32_e32 vcc_lo, 0, v5
	v_lshrrev_b32_e32 v12, 2, v12
	v_cmp_eq_u32_e64 s0, 3, v14
	s_delay_alu instid0(VALU_DEP_4)
	v_and_b32_e32 v15, 7, v7
	s_wait_alu 0xfffd
	v_cndmask_b32_e64 v5, 0, 1, vcc_lo
	v_cmp_ne_u32_e32 vcc_lo, 0, v9
	v_lshrrev_b32_e32 v7, 2, v7
	v_cmp_lt_i32_e64 s1, 5, v15
	v_cmp_eq_u32_e64 s2, 3, v15
	s_wait_alu 0xfffd
	v_cndmask_b32_e64 v9, 0, 1, vcc_lo
	v_cmp_lt_i32_e32 vcc_lo, 5, v14
	v_lshl_or_b32 v5, v5, 9, 0x7c00
	s_delay_alu instid0(VALU_DEP_3)
	v_lshl_or_b32 v9, v9, 9, 0x7c00
	s_or_b32 vcc_lo, s0, vcc_lo
	s_wait_alu 0xfffe
	v_add_co_ci_u32_e32 v12, vcc_lo, 0, v12, vcc_lo
	s_or_b32 vcc_lo, s2, s1
	s_wait_alu 0xfffe
	v_add_co_ci_u32_e32 v7, vcc_lo, 0, v7, vcc_lo
	v_cmp_gt_i32_e32 vcc_lo, 31, v11
	s_wait_alu 0xfffd
	v_cndmask_b32_e32 v12, 0x7c00, v12, vcc_lo
	v_cmp_gt_i32_e32 vcc_lo, 31, v13
	s_wait_alu 0xfffd
	v_cndmask_b32_e32 v7, 0x7c00, v7, vcc_lo
	v_cmp_eq_u32_e32 vcc_lo, 0x40f, v11
	s_wait_alu 0xfffd
	v_cndmask_b32_e32 v5, v12, v5, vcc_lo
	v_cmp_eq_u32_e32 vcc_lo, 0x40f, v13
	s_delay_alu instid0(VALU_DEP_2)
	v_and_or_b32 v5, 0x8000, v8, v5
	s_wait_alu 0xfffd
	v_cndmask_b32_e32 v7, v7, v9, vcc_lo
	v_add_co_u32 v3, vcc_lo, v3, s6
	s_wait_alu 0xfffd
	v_add_co_ci_u32_e32 v4, vcc_lo, s7, v4, vcc_lo
	s_delay_alu instid0(VALU_DEP_3) | instskip(SKIP_1) | instid1(VALU_DEP_1)
	v_and_or_b32 v7, 0x8000, v10, v7
	v_and_b32_e32 v5, 0xffff, v5
	v_lshl_or_b32 v5, v7, 16, v5
	v_lshrrev_b32_e32 v7, 16, v6
	global_store_b32 v[3:4], v5, off
	global_load_b32 v5, v40, s[12:13] offset:1200
	s_wait_loadcnt 0x0
	v_lshrrev_b32_e32 v8, 16, v5
	s_delay_alu instid0(VALU_DEP_1) | instskip(SKIP_1) | instid1(VALU_DEP_2)
	v_mul_f16_e32 v9, v7, v8
	v_mul_f16_e32 v8, v6, v8
	v_fmac_f16_e32 v9, v6, v5
	s_delay_alu instid0(VALU_DEP_2) | instskip(NEXT) | instid1(VALU_DEP_2)
	v_fma_f16 v5, v5, v7, -v8
	v_cvt_f32_f16_e32 v6, v9
	s_delay_alu instid0(VALU_DEP_2) | instskip(NEXT) | instid1(VALU_DEP_2)
	v_cvt_f32_f16_e32 v7, v5
	v_cvt_f64_f32_e32 v[5:6], v6
	s_delay_alu instid0(VALU_DEP_2) | instskip(NEXT) | instid1(VALU_DEP_2)
	v_cvt_f64_f32_e32 v[7:8], v7
	v_mul_f64_e32 v[5:6], s[8:9], v[5:6]
	s_delay_alu instid0(VALU_DEP_2) | instskip(NEXT) | instid1(VALU_DEP_2)
	v_mul_f64_e32 v[7:8], s[8:9], v[7:8]
	v_and_or_b32 v5, 0x1ff, v6, v5
	s_delay_alu instid0(VALU_DEP_2)
	v_and_or_b32 v7, 0x1ff, v8, v7
	v_lshrrev_b32_e32 v9, 8, v6
	v_bfe_u32 v10, v6, 20, 11
	v_lshrrev_b32_e32 v11, 8, v8
	v_cmp_ne_u32_e32 vcc_lo, 0, v5
	v_bfe_u32 v12, v8, 20, 11
	v_lshrrev_b32_e32 v6, 16, v6
	v_sub_nc_u32_e32 v13, 0x3f1, v10
	v_add_nc_u32_e32 v10, 0xfffffc10, v10
	s_wait_alu 0xfffd
	v_cndmask_b32_e64 v5, 0, 1, vcc_lo
	v_cmp_ne_u32_e32 vcc_lo, 0, v7
	v_lshrrev_b32_e32 v8, 16, v8
	s_delay_alu instid0(VALU_DEP_3) | instskip(SKIP_4) | instid1(VALU_DEP_3)
	v_and_or_b32 v5, 0xffe, v9, v5
	s_wait_alu 0xfffd
	v_cndmask_b32_e64 v7, 0, 1, vcc_lo
	v_sub_nc_u32_e32 v9, 0x3f1, v12
	v_add_nc_u32_e32 v12, 0xfffffc10, v12
	v_and_or_b32 v7, 0xffe, v11, v7
	v_med3_i32 v11, v13, 0, 13
	v_or_b32_e32 v13, 0x1000, v5
	v_med3_i32 v9, v9, 0, 13
	s_delay_alu instid0(VALU_DEP_4) | instskip(NEXT) | instid1(VALU_DEP_3)
	v_or_b32_e32 v14, 0x1000, v7
	v_lshrrev_b32_e32 v15, v11, v13
	s_delay_alu instid0(VALU_DEP_2) | instskip(NEXT) | instid1(VALU_DEP_2)
	v_lshrrev_b32_e32 v16, v9, v14
	v_lshlrev_b32_e32 v11, v11, v15
	s_delay_alu instid0(VALU_DEP_2) | instskip(NEXT) | instid1(VALU_DEP_2)
	v_lshlrev_b32_e32 v9, v9, v16
	v_cmp_ne_u32_e32 vcc_lo, v11, v13
	v_lshl_or_b32 v13, v10, 12, v5
	s_wait_alu 0xfffd
	v_cndmask_b32_e64 v11, 0, 1, vcc_lo
	v_cmp_ne_u32_e32 vcc_lo, v9, v14
	v_lshl_or_b32 v14, v12, 12, v7
	s_delay_alu instid0(VALU_DEP_3) | instskip(SKIP_3) | instid1(VALU_DEP_2)
	v_or_b32_e32 v11, v15, v11
	s_wait_alu 0xfffd
	v_cndmask_b32_e64 v9, 0, 1, vcc_lo
	v_cmp_gt_i32_e32 vcc_lo, 1, v10
	v_or_b32_e32 v9, v16, v9
	s_wait_alu 0xfffd
	v_cndmask_b32_e32 v11, v13, v11, vcc_lo
	v_cmp_gt_i32_e32 vcc_lo, 1, v12
	s_delay_alu instid0(VALU_DEP_2)
	v_and_b32_e32 v13, 7, v11
	s_wait_alu 0xfffd
	v_cndmask_b32_e32 v9, v14, v9, vcc_lo
	v_cmp_ne_u32_e32 vcc_lo, 0, v5
	v_lshrrev_b32_e32 v11, 2, v11
	v_cmp_eq_u32_e64 s0, 3, v13
	s_delay_alu instid0(VALU_DEP_4)
	v_and_b32_e32 v14, 7, v9
	s_wait_alu 0xfffd
	v_cndmask_b32_e64 v5, 0, 1, vcc_lo
	v_cmp_ne_u32_e32 vcc_lo, 0, v7
	v_lshrrev_b32_e32 v9, 2, v9
	v_cmp_lt_i32_e64 s1, 5, v14
	v_cmp_eq_u32_e64 s2, 3, v14
	s_wait_alu 0xfffd
	v_cndmask_b32_e64 v7, 0, 1, vcc_lo
	v_cmp_lt_i32_e32 vcc_lo, 5, v13
	v_lshl_or_b32 v5, v5, 9, 0x7c00
	s_delay_alu instid0(VALU_DEP_3)
	v_lshl_or_b32 v7, v7, 9, 0x7c00
	s_or_b32 vcc_lo, s0, vcc_lo
	s_wait_alu 0xfffe
	v_add_co_ci_u32_e32 v11, vcc_lo, 0, v11, vcc_lo
	s_or_b32 vcc_lo, s2, s1
	s_wait_alu 0xfffe
	v_add_co_ci_u32_e32 v9, vcc_lo, 0, v9, vcc_lo
	v_cmp_gt_i32_e32 vcc_lo, 31, v10
	s_wait_alu 0xfffd
	v_cndmask_b32_e32 v11, 0x7c00, v11, vcc_lo
	v_cmp_gt_i32_e32 vcc_lo, 31, v12
	s_wait_alu 0xfffd
	v_cndmask_b32_e32 v9, 0x7c00, v9, vcc_lo
	v_cmp_eq_u32_e32 vcc_lo, 0x40f, v10
	s_wait_alu 0xfffd
	v_cndmask_b32_e32 v5, v11, v5, vcc_lo
	v_cmp_eq_u32_e32 vcc_lo, 0x40f, v12
	s_delay_alu instid0(VALU_DEP_2)
	v_and_or_b32 v5, 0x8000, v6, v5
	s_wait_alu 0xfffd
	v_cndmask_b32_e32 v7, v9, v7, vcc_lo
	v_add_co_u32 v3, vcc_lo, v3, s6
	s_wait_alu 0xfffd
	v_add_co_ci_u32_e32 v4, vcc_lo, s7, v4, vcc_lo
	s_delay_alu instid0(VALU_DEP_3) | instskip(SKIP_1) | instid1(VALU_DEP_1)
	v_and_or_b32 v6, 0x8000, v8, v7
	v_and_b32_e32 v5, 0xffff, v5
	v_lshl_or_b32 v5, v6, 16, v5
	global_store_b32 v[3:4], v5, off
	global_load_b32 v7, v40, s[12:13] offset:1320
	ds_load_2addr_b32 v[5:6], v2 offset0:74 offset1:104
	s_wait_dscnt 0x0
	v_lshrrev_b32_e32 v8, 16, v5
	s_wait_loadcnt 0x0
	v_lshrrev_b32_e32 v9, 16, v7
	s_delay_alu instid0(VALU_DEP_1) | instskip(SKIP_1) | instid1(VALU_DEP_2)
	v_mul_f16_e32 v10, v8, v9
	v_mul_f16_e32 v9, v5, v9
	v_fmac_f16_e32 v10, v5, v7
	s_delay_alu instid0(VALU_DEP_2) | instskip(NEXT) | instid1(VALU_DEP_2)
	v_fma_f16 v5, v7, v8, -v9
	v_cvt_f32_f16_e32 v7, v10
	s_delay_alu instid0(VALU_DEP_2) | instskip(NEXT) | instid1(VALU_DEP_2)
	v_cvt_f32_f16_e32 v5, v5
	v_cvt_f64_f32_e32 v[7:8], v7
	s_delay_alu instid0(VALU_DEP_2) | instskip(NEXT) | instid1(VALU_DEP_2)
	v_cvt_f64_f32_e32 v[9:10], v5
	v_mul_f64_e32 v[7:8], s[8:9], v[7:8]
	s_delay_alu instid0(VALU_DEP_2) | instskip(NEXT) | instid1(VALU_DEP_2)
	v_mul_f64_e32 v[9:10], s[8:9], v[9:10]
	v_and_or_b32 v5, 0x1ff, v8, v7
	s_delay_alu instid0(VALU_DEP_2)
	v_and_or_b32 v9, 0x1ff, v10, v9
	v_lshrrev_b32_e32 v7, 8, v8
	v_bfe_u32 v11, v8, 20, 11
	v_lshrrev_b32_e32 v12, 8, v10
	v_cmp_ne_u32_e32 vcc_lo, 0, v5
	v_bfe_u32 v13, v10, 20, 11
	v_lshrrev_b32_e32 v8, 16, v8
	v_sub_nc_u32_e32 v14, 0x3f1, v11
	v_add_nc_u32_e32 v11, 0xfffffc10, v11
	s_wait_alu 0xfffd
	v_cndmask_b32_e64 v5, 0, 1, vcc_lo
	v_cmp_ne_u32_e32 vcc_lo, 0, v9
	v_lshrrev_b32_e32 v10, 16, v10
	s_delay_alu instid0(VALU_DEP_3) | instskip(SKIP_4) | instid1(VALU_DEP_3)
	v_and_or_b32 v5, 0xffe, v7, v5
	s_wait_alu 0xfffd
	v_cndmask_b32_e64 v9, 0, 1, vcc_lo
	v_sub_nc_u32_e32 v7, 0x3f1, v13
	v_add_nc_u32_e32 v13, 0xfffffc10, v13
	v_and_or_b32 v9, 0xffe, v12, v9
	v_med3_i32 v12, v14, 0, 13
	v_or_b32_e32 v14, 0x1000, v5
	v_med3_i32 v7, v7, 0, 13
	s_delay_alu instid0(VALU_DEP_4) | instskip(NEXT) | instid1(VALU_DEP_3)
	v_or_b32_e32 v15, 0x1000, v9
	v_lshrrev_b32_e32 v16, v12, v14
	s_delay_alu instid0(VALU_DEP_2) | instskip(NEXT) | instid1(VALU_DEP_2)
	v_lshrrev_b32_e32 v17, v7, v15
	v_lshlrev_b32_e32 v12, v12, v16
	s_delay_alu instid0(VALU_DEP_2) | instskip(NEXT) | instid1(VALU_DEP_2)
	v_lshlrev_b32_e32 v7, v7, v17
	v_cmp_ne_u32_e32 vcc_lo, v12, v14
	v_lshl_or_b32 v14, v11, 12, v5
	s_wait_alu 0xfffd
	v_cndmask_b32_e64 v12, 0, 1, vcc_lo
	v_cmp_ne_u32_e32 vcc_lo, v7, v15
	v_lshl_or_b32 v15, v13, 12, v9
	s_delay_alu instid0(VALU_DEP_3) | instskip(SKIP_3) | instid1(VALU_DEP_2)
	v_or_b32_e32 v12, v16, v12
	s_wait_alu 0xfffd
	v_cndmask_b32_e64 v7, 0, 1, vcc_lo
	v_cmp_gt_i32_e32 vcc_lo, 1, v11
	v_or_b32_e32 v7, v17, v7
	s_wait_alu 0xfffd
	v_cndmask_b32_e32 v12, v14, v12, vcc_lo
	v_cmp_gt_i32_e32 vcc_lo, 1, v13
	s_wait_alu 0xfffd
	s_delay_alu instid0(VALU_DEP_2) | instskip(SKIP_2) | instid1(VALU_DEP_3)
	v_dual_cndmask_b32 v7, v15, v7 :: v_dual_and_b32 v14, 7, v12
	v_cmp_ne_u32_e32 vcc_lo, 0, v5
	v_lshrrev_b32_e32 v12, 2, v12
	v_cmp_eq_u32_e64 s0, 3, v14
	s_delay_alu instid0(VALU_DEP_4)
	v_and_b32_e32 v15, 7, v7
	s_wait_alu 0xfffd
	v_cndmask_b32_e64 v5, 0, 1, vcc_lo
	v_cmp_ne_u32_e32 vcc_lo, 0, v9
	v_lshrrev_b32_e32 v7, 2, v7
	v_cmp_lt_i32_e64 s1, 5, v15
	v_cmp_eq_u32_e64 s2, 3, v15
	s_wait_alu 0xfffd
	v_cndmask_b32_e64 v9, 0, 1, vcc_lo
	v_cmp_lt_i32_e32 vcc_lo, 5, v14
	v_lshl_or_b32 v5, v5, 9, 0x7c00
	s_delay_alu instid0(VALU_DEP_3)
	v_lshl_or_b32 v9, v9, 9, 0x7c00
	s_or_b32 vcc_lo, s0, vcc_lo
	s_wait_alu 0xfffe
	v_add_co_ci_u32_e32 v12, vcc_lo, 0, v12, vcc_lo
	s_or_b32 vcc_lo, s2, s1
	s_wait_alu 0xfffe
	v_add_co_ci_u32_e32 v7, vcc_lo, 0, v7, vcc_lo
	v_cmp_gt_i32_e32 vcc_lo, 31, v11
	s_wait_alu 0xfffd
	v_cndmask_b32_e32 v12, 0x7c00, v12, vcc_lo
	v_cmp_gt_i32_e32 vcc_lo, 31, v13
	s_wait_alu 0xfffd
	v_cndmask_b32_e32 v7, 0x7c00, v7, vcc_lo
	v_cmp_eq_u32_e32 vcc_lo, 0x40f, v11
	s_wait_alu 0xfffd
	v_cndmask_b32_e32 v5, v12, v5, vcc_lo
	v_cmp_eq_u32_e32 vcc_lo, 0x40f, v13
	s_delay_alu instid0(VALU_DEP_2)
	v_and_or_b32 v5, 0x8000, v8, v5
	s_wait_alu 0xfffd
	v_cndmask_b32_e32 v7, v7, v9, vcc_lo
	v_add_co_u32 v3, vcc_lo, v3, s6
	s_wait_alu 0xfffd
	v_add_co_ci_u32_e32 v4, vcc_lo, s7, v4, vcc_lo
	s_delay_alu instid0(VALU_DEP_3) | instskip(SKIP_1) | instid1(VALU_DEP_1)
	v_and_or_b32 v7, 0x8000, v10, v7
	v_and_b32_e32 v5, 0xffff, v5
	v_lshl_or_b32 v5, v7, 16, v5
	v_lshrrev_b32_e32 v7, 16, v6
	global_store_b32 v[3:4], v5, off
	global_load_b32 v5, v40, s[12:13] offset:1440
	s_wait_loadcnt 0x0
	v_lshrrev_b32_e32 v8, 16, v5
	s_delay_alu instid0(VALU_DEP_1) | instskip(SKIP_1) | instid1(VALU_DEP_2)
	v_mul_f16_e32 v9, v7, v8
	v_mul_f16_e32 v8, v6, v8
	v_fmac_f16_e32 v9, v6, v5
	s_delay_alu instid0(VALU_DEP_2) | instskip(NEXT) | instid1(VALU_DEP_2)
	v_fma_f16 v5, v5, v7, -v8
	v_cvt_f32_f16_e32 v6, v9
	s_delay_alu instid0(VALU_DEP_2) | instskip(NEXT) | instid1(VALU_DEP_2)
	v_cvt_f32_f16_e32 v7, v5
	v_cvt_f64_f32_e32 v[5:6], v6
	s_delay_alu instid0(VALU_DEP_2) | instskip(NEXT) | instid1(VALU_DEP_2)
	v_cvt_f64_f32_e32 v[7:8], v7
	v_mul_f64_e32 v[5:6], s[8:9], v[5:6]
	s_delay_alu instid0(VALU_DEP_2) | instskip(NEXT) | instid1(VALU_DEP_2)
	v_mul_f64_e32 v[7:8], s[8:9], v[7:8]
	v_and_or_b32 v5, 0x1ff, v6, v5
	s_delay_alu instid0(VALU_DEP_2)
	v_and_or_b32 v7, 0x1ff, v8, v7
	v_lshrrev_b32_e32 v9, 8, v6
	v_bfe_u32 v10, v6, 20, 11
	v_lshrrev_b32_e32 v11, 8, v8
	v_cmp_ne_u32_e32 vcc_lo, 0, v5
	v_bfe_u32 v12, v8, 20, 11
	v_lshrrev_b32_e32 v6, 16, v6
	v_sub_nc_u32_e32 v13, 0x3f1, v10
	v_add_nc_u32_e32 v10, 0xfffffc10, v10
	s_wait_alu 0xfffd
	v_cndmask_b32_e64 v5, 0, 1, vcc_lo
	v_cmp_ne_u32_e32 vcc_lo, 0, v7
	v_lshrrev_b32_e32 v8, 16, v8
	s_delay_alu instid0(VALU_DEP_3) | instskip(SKIP_4) | instid1(VALU_DEP_3)
	v_and_or_b32 v5, 0xffe, v9, v5
	s_wait_alu 0xfffd
	v_cndmask_b32_e64 v7, 0, 1, vcc_lo
	v_sub_nc_u32_e32 v9, 0x3f1, v12
	v_add_nc_u32_e32 v12, 0xfffffc10, v12
	v_and_or_b32 v7, 0xffe, v11, v7
	v_med3_i32 v11, v13, 0, 13
	v_or_b32_e32 v13, 0x1000, v5
	v_med3_i32 v9, v9, 0, 13
	s_delay_alu instid0(VALU_DEP_4) | instskip(NEXT) | instid1(VALU_DEP_3)
	v_or_b32_e32 v14, 0x1000, v7
	v_lshrrev_b32_e32 v15, v11, v13
	s_delay_alu instid0(VALU_DEP_2) | instskip(NEXT) | instid1(VALU_DEP_2)
	v_lshrrev_b32_e32 v16, v9, v14
	v_lshlrev_b32_e32 v11, v11, v15
	s_delay_alu instid0(VALU_DEP_2) | instskip(NEXT) | instid1(VALU_DEP_2)
	v_lshlrev_b32_e32 v9, v9, v16
	v_cmp_ne_u32_e32 vcc_lo, v11, v13
	v_lshl_or_b32 v13, v10, 12, v5
	s_wait_alu 0xfffd
	v_cndmask_b32_e64 v11, 0, 1, vcc_lo
	v_cmp_ne_u32_e32 vcc_lo, v9, v14
	v_lshl_or_b32 v14, v12, 12, v7
	s_delay_alu instid0(VALU_DEP_3) | instskip(SKIP_3) | instid1(VALU_DEP_2)
	v_or_b32_e32 v11, v15, v11
	s_wait_alu 0xfffd
	v_cndmask_b32_e64 v9, 0, 1, vcc_lo
	v_cmp_gt_i32_e32 vcc_lo, 1, v10
	v_or_b32_e32 v9, v16, v9
	s_wait_alu 0xfffd
	v_cndmask_b32_e32 v11, v13, v11, vcc_lo
	v_cmp_gt_i32_e32 vcc_lo, 1, v12
	s_delay_alu instid0(VALU_DEP_2)
	v_and_b32_e32 v13, 7, v11
	s_wait_alu 0xfffd
	v_cndmask_b32_e32 v9, v14, v9, vcc_lo
	v_cmp_ne_u32_e32 vcc_lo, 0, v5
	v_lshrrev_b32_e32 v11, 2, v11
	v_cmp_eq_u32_e64 s0, 3, v13
	s_delay_alu instid0(VALU_DEP_4)
	v_and_b32_e32 v14, 7, v9
	s_wait_alu 0xfffd
	v_cndmask_b32_e64 v5, 0, 1, vcc_lo
	v_cmp_ne_u32_e32 vcc_lo, 0, v7
	v_lshrrev_b32_e32 v9, 2, v9
	v_cmp_lt_i32_e64 s1, 5, v14
	v_cmp_eq_u32_e64 s2, 3, v14
	s_wait_alu 0xfffd
	v_cndmask_b32_e64 v7, 0, 1, vcc_lo
	v_cmp_lt_i32_e32 vcc_lo, 5, v13
	v_lshl_or_b32 v5, v5, 9, 0x7c00
	s_delay_alu instid0(VALU_DEP_3)
	v_lshl_or_b32 v7, v7, 9, 0x7c00
	s_or_b32 vcc_lo, s0, vcc_lo
	s_wait_alu 0xfffe
	v_add_co_ci_u32_e32 v11, vcc_lo, 0, v11, vcc_lo
	s_or_b32 vcc_lo, s2, s1
	s_wait_alu 0xfffe
	v_add_co_ci_u32_e32 v9, vcc_lo, 0, v9, vcc_lo
	v_cmp_gt_i32_e32 vcc_lo, 31, v10
	s_wait_alu 0xfffd
	v_cndmask_b32_e32 v11, 0x7c00, v11, vcc_lo
	v_cmp_gt_i32_e32 vcc_lo, 31, v12
	s_wait_alu 0xfffd
	v_cndmask_b32_e32 v9, 0x7c00, v9, vcc_lo
	v_cmp_eq_u32_e32 vcc_lo, 0x40f, v10
	s_wait_alu 0xfffd
	v_cndmask_b32_e32 v5, v11, v5, vcc_lo
	v_cmp_eq_u32_e32 vcc_lo, 0x40f, v12
	s_delay_alu instid0(VALU_DEP_2)
	v_and_or_b32 v5, 0x8000, v6, v5
	s_wait_alu 0xfffd
	v_cndmask_b32_e32 v7, v9, v7, vcc_lo
	v_add_co_u32 v3, vcc_lo, v3, s6
	s_wait_alu 0xfffd
	v_add_co_ci_u32_e32 v4, vcc_lo, s7, v4, vcc_lo
	s_delay_alu instid0(VALU_DEP_3) | instskip(SKIP_1) | instid1(VALU_DEP_1)
	v_and_or_b32 v6, 0x8000, v8, v7
	v_and_b32_e32 v5, 0xffff, v5
	v_lshl_or_b32 v5, v6, 16, v5
	global_store_b32 v[3:4], v5, off
	global_load_b32 v7, v40, s[12:13] offset:1560
	ds_load_2addr_b32 v[5:6], v2 offset0:134 offset1:164
	s_wait_dscnt 0x0
	v_lshrrev_b32_e32 v8, 16, v5
	s_wait_loadcnt 0x0
	v_lshrrev_b32_e32 v9, 16, v7
	s_delay_alu instid0(VALU_DEP_1) | instskip(SKIP_1) | instid1(VALU_DEP_2)
	v_mul_f16_e32 v10, v8, v9
	v_mul_f16_e32 v9, v5, v9
	v_fmac_f16_e32 v10, v5, v7
	s_delay_alu instid0(VALU_DEP_2) | instskip(NEXT) | instid1(VALU_DEP_2)
	v_fma_f16 v5, v7, v8, -v9
	v_cvt_f32_f16_e32 v7, v10
	s_delay_alu instid0(VALU_DEP_2) | instskip(NEXT) | instid1(VALU_DEP_2)
	v_cvt_f32_f16_e32 v5, v5
	v_cvt_f64_f32_e32 v[7:8], v7
	s_delay_alu instid0(VALU_DEP_2) | instskip(NEXT) | instid1(VALU_DEP_2)
	v_cvt_f64_f32_e32 v[9:10], v5
	v_mul_f64_e32 v[7:8], s[8:9], v[7:8]
	s_delay_alu instid0(VALU_DEP_2) | instskip(NEXT) | instid1(VALU_DEP_2)
	v_mul_f64_e32 v[9:10], s[8:9], v[9:10]
	v_and_or_b32 v5, 0x1ff, v8, v7
	s_delay_alu instid0(VALU_DEP_2)
	v_and_or_b32 v9, 0x1ff, v10, v9
	v_lshrrev_b32_e32 v7, 8, v8
	v_bfe_u32 v11, v8, 20, 11
	v_lshrrev_b32_e32 v12, 8, v10
	v_cmp_ne_u32_e32 vcc_lo, 0, v5
	v_bfe_u32 v13, v10, 20, 11
	v_lshrrev_b32_e32 v8, 16, v8
	v_sub_nc_u32_e32 v14, 0x3f1, v11
	v_add_nc_u32_e32 v11, 0xfffffc10, v11
	s_wait_alu 0xfffd
	v_cndmask_b32_e64 v5, 0, 1, vcc_lo
	v_cmp_ne_u32_e32 vcc_lo, 0, v9
	v_lshrrev_b32_e32 v10, 16, v10
	s_delay_alu instid0(VALU_DEP_3) | instskip(SKIP_4) | instid1(VALU_DEP_3)
	v_and_or_b32 v5, 0xffe, v7, v5
	s_wait_alu 0xfffd
	v_cndmask_b32_e64 v9, 0, 1, vcc_lo
	v_sub_nc_u32_e32 v7, 0x3f1, v13
	v_add_nc_u32_e32 v13, 0xfffffc10, v13
	v_and_or_b32 v9, 0xffe, v12, v9
	v_med3_i32 v12, v14, 0, 13
	v_or_b32_e32 v14, 0x1000, v5
	v_med3_i32 v7, v7, 0, 13
	s_delay_alu instid0(VALU_DEP_4) | instskip(NEXT) | instid1(VALU_DEP_3)
	v_or_b32_e32 v15, 0x1000, v9
	v_lshrrev_b32_e32 v16, v12, v14
	s_delay_alu instid0(VALU_DEP_2) | instskip(NEXT) | instid1(VALU_DEP_2)
	v_lshrrev_b32_e32 v17, v7, v15
	v_lshlrev_b32_e32 v12, v12, v16
	s_delay_alu instid0(VALU_DEP_2) | instskip(NEXT) | instid1(VALU_DEP_2)
	v_lshlrev_b32_e32 v7, v7, v17
	v_cmp_ne_u32_e32 vcc_lo, v12, v14
	v_lshl_or_b32 v14, v11, 12, v5
	s_wait_alu 0xfffd
	v_cndmask_b32_e64 v12, 0, 1, vcc_lo
	v_cmp_ne_u32_e32 vcc_lo, v7, v15
	v_lshl_or_b32 v15, v13, 12, v9
	s_delay_alu instid0(VALU_DEP_3) | instskip(SKIP_3) | instid1(VALU_DEP_2)
	v_or_b32_e32 v12, v16, v12
	s_wait_alu 0xfffd
	v_cndmask_b32_e64 v7, 0, 1, vcc_lo
	v_cmp_gt_i32_e32 vcc_lo, 1, v11
	v_or_b32_e32 v7, v17, v7
	s_wait_alu 0xfffd
	v_cndmask_b32_e32 v12, v14, v12, vcc_lo
	v_cmp_gt_i32_e32 vcc_lo, 1, v13
	s_wait_alu 0xfffd
	s_delay_alu instid0(VALU_DEP_2) | instskip(SKIP_2) | instid1(VALU_DEP_3)
	v_dual_cndmask_b32 v7, v15, v7 :: v_dual_and_b32 v14, 7, v12
	v_cmp_ne_u32_e32 vcc_lo, 0, v5
	v_lshrrev_b32_e32 v12, 2, v12
	v_cmp_eq_u32_e64 s0, 3, v14
	s_delay_alu instid0(VALU_DEP_4)
	v_and_b32_e32 v15, 7, v7
	s_wait_alu 0xfffd
	v_cndmask_b32_e64 v5, 0, 1, vcc_lo
	v_cmp_ne_u32_e32 vcc_lo, 0, v9
	v_lshrrev_b32_e32 v7, 2, v7
	v_cmp_lt_i32_e64 s1, 5, v15
	v_cmp_eq_u32_e64 s2, 3, v15
	s_wait_alu 0xfffd
	v_cndmask_b32_e64 v9, 0, 1, vcc_lo
	v_cmp_lt_i32_e32 vcc_lo, 5, v14
	v_lshl_or_b32 v5, v5, 9, 0x7c00
	s_delay_alu instid0(VALU_DEP_3)
	v_lshl_or_b32 v9, v9, 9, 0x7c00
	s_or_b32 vcc_lo, s0, vcc_lo
	s_wait_alu 0xfffe
	v_add_co_ci_u32_e32 v12, vcc_lo, 0, v12, vcc_lo
	s_or_b32 vcc_lo, s2, s1
	s_wait_alu 0xfffe
	v_add_co_ci_u32_e32 v7, vcc_lo, 0, v7, vcc_lo
	v_cmp_gt_i32_e32 vcc_lo, 31, v11
	s_wait_alu 0xfffd
	v_cndmask_b32_e32 v12, 0x7c00, v12, vcc_lo
	v_cmp_gt_i32_e32 vcc_lo, 31, v13
	s_wait_alu 0xfffd
	v_cndmask_b32_e32 v7, 0x7c00, v7, vcc_lo
	v_cmp_eq_u32_e32 vcc_lo, 0x40f, v11
	s_wait_alu 0xfffd
	v_cndmask_b32_e32 v5, v12, v5, vcc_lo
	v_cmp_eq_u32_e32 vcc_lo, 0x40f, v13
	s_delay_alu instid0(VALU_DEP_2)
	v_and_or_b32 v5, 0x8000, v8, v5
	s_wait_alu 0xfffd
	v_cndmask_b32_e32 v7, v7, v9, vcc_lo
	v_add_co_u32 v3, vcc_lo, v3, s6
	s_wait_alu 0xfffd
	v_add_co_ci_u32_e32 v4, vcc_lo, s7, v4, vcc_lo
	s_delay_alu instid0(VALU_DEP_3) | instskip(SKIP_1) | instid1(VALU_DEP_1)
	v_and_or_b32 v7, 0x8000, v10, v7
	v_and_b32_e32 v5, 0xffff, v5
	v_lshl_or_b32 v5, v7, 16, v5
	v_lshrrev_b32_e32 v7, 16, v6
	global_store_b32 v[3:4], v5, off
	global_load_b32 v5, v40, s[12:13] offset:1680
	s_wait_loadcnt 0x0
	v_lshrrev_b32_e32 v8, 16, v5
	s_delay_alu instid0(VALU_DEP_1) | instskip(SKIP_1) | instid1(VALU_DEP_2)
	v_mul_f16_e32 v9, v7, v8
	v_mul_f16_e32 v8, v6, v8
	v_fmac_f16_e32 v9, v6, v5
	s_delay_alu instid0(VALU_DEP_2) | instskip(NEXT) | instid1(VALU_DEP_2)
	v_fma_f16 v5, v5, v7, -v8
	v_cvt_f32_f16_e32 v6, v9
	s_delay_alu instid0(VALU_DEP_2) | instskip(NEXT) | instid1(VALU_DEP_2)
	v_cvt_f32_f16_e32 v7, v5
	v_cvt_f64_f32_e32 v[5:6], v6
	s_delay_alu instid0(VALU_DEP_2) | instskip(NEXT) | instid1(VALU_DEP_2)
	v_cvt_f64_f32_e32 v[7:8], v7
	v_mul_f64_e32 v[5:6], s[8:9], v[5:6]
	s_delay_alu instid0(VALU_DEP_2) | instskip(NEXT) | instid1(VALU_DEP_2)
	v_mul_f64_e32 v[7:8], s[8:9], v[7:8]
	v_and_or_b32 v5, 0x1ff, v6, v5
	s_delay_alu instid0(VALU_DEP_2)
	v_and_or_b32 v7, 0x1ff, v8, v7
	v_lshrrev_b32_e32 v9, 8, v6
	v_bfe_u32 v10, v6, 20, 11
	v_lshrrev_b32_e32 v11, 8, v8
	v_cmp_ne_u32_e32 vcc_lo, 0, v5
	v_bfe_u32 v12, v8, 20, 11
	v_lshrrev_b32_e32 v6, 16, v6
	v_sub_nc_u32_e32 v13, 0x3f1, v10
	v_add_nc_u32_e32 v10, 0xfffffc10, v10
	s_wait_alu 0xfffd
	v_cndmask_b32_e64 v5, 0, 1, vcc_lo
	v_cmp_ne_u32_e32 vcc_lo, 0, v7
	v_lshrrev_b32_e32 v8, 16, v8
	s_delay_alu instid0(VALU_DEP_3) | instskip(SKIP_4) | instid1(VALU_DEP_3)
	v_and_or_b32 v5, 0xffe, v9, v5
	s_wait_alu 0xfffd
	v_cndmask_b32_e64 v7, 0, 1, vcc_lo
	v_sub_nc_u32_e32 v9, 0x3f1, v12
	v_add_nc_u32_e32 v12, 0xfffffc10, v12
	v_and_or_b32 v7, 0xffe, v11, v7
	v_med3_i32 v11, v13, 0, 13
	v_or_b32_e32 v13, 0x1000, v5
	v_med3_i32 v9, v9, 0, 13
	s_delay_alu instid0(VALU_DEP_4) | instskip(NEXT) | instid1(VALU_DEP_3)
	v_or_b32_e32 v14, 0x1000, v7
	v_lshrrev_b32_e32 v15, v11, v13
	s_delay_alu instid0(VALU_DEP_2) | instskip(NEXT) | instid1(VALU_DEP_2)
	v_lshrrev_b32_e32 v16, v9, v14
	v_lshlrev_b32_e32 v11, v11, v15
	s_delay_alu instid0(VALU_DEP_2) | instskip(NEXT) | instid1(VALU_DEP_2)
	v_lshlrev_b32_e32 v9, v9, v16
	v_cmp_ne_u32_e32 vcc_lo, v11, v13
	v_lshl_or_b32 v13, v10, 12, v5
	s_wait_alu 0xfffd
	v_cndmask_b32_e64 v11, 0, 1, vcc_lo
	v_cmp_ne_u32_e32 vcc_lo, v9, v14
	v_lshl_or_b32 v14, v12, 12, v7
	s_delay_alu instid0(VALU_DEP_3) | instskip(SKIP_3) | instid1(VALU_DEP_2)
	v_or_b32_e32 v11, v15, v11
	s_wait_alu 0xfffd
	v_cndmask_b32_e64 v9, 0, 1, vcc_lo
	v_cmp_gt_i32_e32 vcc_lo, 1, v10
	v_or_b32_e32 v9, v16, v9
	s_wait_alu 0xfffd
	v_cndmask_b32_e32 v11, v13, v11, vcc_lo
	v_cmp_gt_i32_e32 vcc_lo, 1, v12
	s_delay_alu instid0(VALU_DEP_2)
	v_and_b32_e32 v13, 7, v11
	s_wait_alu 0xfffd
	v_cndmask_b32_e32 v9, v14, v9, vcc_lo
	v_cmp_ne_u32_e32 vcc_lo, 0, v5
	v_lshrrev_b32_e32 v11, 2, v11
	v_cmp_eq_u32_e64 s0, 3, v13
	s_delay_alu instid0(VALU_DEP_4)
	v_and_b32_e32 v14, 7, v9
	s_wait_alu 0xfffd
	v_cndmask_b32_e64 v5, 0, 1, vcc_lo
	v_cmp_ne_u32_e32 vcc_lo, 0, v7
	v_lshrrev_b32_e32 v9, 2, v9
	v_cmp_lt_i32_e64 s1, 5, v14
	v_cmp_eq_u32_e64 s2, 3, v14
	s_wait_alu 0xfffd
	v_cndmask_b32_e64 v7, 0, 1, vcc_lo
	v_cmp_lt_i32_e32 vcc_lo, 5, v13
	v_lshl_or_b32 v5, v5, 9, 0x7c00
	s_delay_alu instid0(VALU_DEP_3)
	v_lshl_or_b32 v7, v7, 9, 0x7c00
	s_or_b32 vcc_lo, s0, vcc_lo
	s_wait_alu 0xfffe
	v_add_co_ci_u32_e32 v11, vcc_lo, 0, v11, vcc_lo
	s_or_b32 vcc_lo, s2, s1
	s_wait_alu 0xfffe
	v_add_co_ci_u32_e32 v9, vcc_lo, 0, v9, vcc_lo
	v_cmp_gt_i32_e32 vcc_lo, 31, v10
	s_wait_alu 0xfffd
	v_cndmask_b32_e32 v11, 0x7c00, v11, vcc_lo
	v_cmp_gt_i32_e32 vcc_lo, 31, v12
	s_wait_alu 0xfffd
	v_cndmask_b32_e32 v9, 0x7c00, v9, vcc_lo
	v_cmp_eq_u32_e32 vcc_lo, 0x40f, v10
	s_wait_alu 0xfffd
	v_cndmask_b32_e32 v5, v11, v5, vcc_lo
	v_cmp_eq_u32_e32 vcc_lo, 0x40f, v12
	s_delay_alu instid0(VALU_DEP_2)
	v_and_or_b32 v5, 0x8000, v6, v5
	s_wait_alu 0xfffd
	v_cndmask_b32_e32 v7, v9, v7, vcc_lo
	v_add_co_u32 v3, vcc_lo, v3, s6
	s_wait_alu 0xfffd
	v_add_co_ci_u32_e32 v4, vcc_lo, s7, v4, vcc_lo
	s_delay_alu instid0(VALU_DEP_3) | instskip(SKIP_1) | instid1(VALU_DEP_1)
	v_and_or_b32 v6, 0x8000, v8, v7
	v_and_b32_e32 v5, 0xffff, v5
	v_lshl_or_b32 v5, v6, 16, v5
	global_store_b32 v[3:4], v5, off
	global_load_b32 v7, v40, s[12:13] offset:1800
	ds_load_2addr_b32 v[5:6], v2 offset0:194 offset1:224
	s_wait_dscnt 0x0
	v_lshrrev_b32_e32 v2, 16, v5
	s_wait_loadcnt 0x0
	v_lshrrev_b32_e32 v8, 16, v7
	s_delay_alu instid0(VALU_DEP_1) | instskip(SKIP_1) | instid1(VALU_DEP_2)
	v_mul_f16_e32 v9, v2, v8
	v_mul_f16_e32 v8, v5, v8
	v_fmac_f16_e32 v9, v5, v7
	s_delay_alu instid0(VALU_DEP_2) | instskip(NEXT) | instid1(VALU_DEP_2)
	v_fma_f16 v2, v7, v2, -v8
	v_cvt_f32_f16_e32 v5, v9
	s_delay_alu instid0(VALU_DEP_2) | instskip(NEXT) | instid1(VALU_DEP_2)
	v_cvt_f32_f16_e32 v2, v2
	v_cvt_f64_f32_e32 v[7:8], v5
	s_delay_alu instid0(VALU_DEP_2) | instskip(NEXT) | instid1(VALU_DEP_2)
	v_cvt_f64_f32_e32 v[9:10], v2
	v_mul_f64_e32 v[7:8], s[8:9], v[7:8]
	s_delay_alu instid0(VALU_DEP_2) | instskip(NEXT) | instid1(VALU_DEP_2)
	v_mul_f64_e32 v[9:10], s[8:9], v[9:10]
	v_and_or_b32 v2, 0x1ff, v8, v7
	s_delay_alu instid0(VALU_DEP_2)
	v_and_or_b32 v9, 0x1ff, v10, v9
	v_lshrrev_b32_e32 v5, 8, v8
	v_bfe_u32 v7, v8, 20, 11
	v_lshrrev_b32_e32 v11, 8, v10
	v_cmp_ne_u32_e32 vcc_lo, 0, v2
	v_bfe_u32 v12, v10, 20, 11
	v_lshrrev_b32_e32 v8, 16, v8
	v_sub_nc_u32_e32 v13, 0x3f1, v7
	v_add_nc_u32_e32 v7, 0xfffffc10, v7
	s_wait_alu 0xfffd
	v_cndmask_b32_e64 v2, 0, 1, vcc_lo
	v_cmp_ne_u32_e32 vcc_lo, 0, v9
	s_delay_alu instid0(VALU_DEP_2) | instskip(SKIP_4) | instid1(VALU_DEP_3)
	v_and_or_b32 v2, 0xffe, v5, v2
	s_wait_alu 0xfffd
	v_cndmask_b32_e64 v9, 0, 1, vcc_lo
	v_sub_nc_u32_e32 v5, 0x3f1, v12
	v_add_nc_u32_e32 v12, 0xfffffc10, v12
	v_and_or_b32 v9, 0xffe, v11, v9
	v_med3_i32 v11, v13, 0, 13
	v_or_b32_e32 v13, 0x1000, v2
	v_med3_i32 v5, v5, 0, 13
	s_delay_alu instid0(VALU_DEP_4) | instskip(NEXT) | instid1(VALU_DEP_3)
	v_or_b32_e32 v14, 0x1000, v9
	v_lshrrev_b32_e32 v15, v11, v13
	s_delay_alu instid0(VALU_DEP_2) | instskip(NEXT) | instid1(VALU_DEP_2)
	v_lshrrev_b32_e32 v16, v5, v14
	v_lshlrev_b32_e32 v11, v11, v15
	s_delay_alu instid0(VALU_DEP_2) | instskip(NEXT) | instid1(VALU_DEP_2)
	v_lshlrev_b32_e32 v5, v5, v16
	v_cmp_ne_u32_e32 vcc_lo, v11, v13
	v_lshl_or_b32 v13, v7, 12, v2
	s_wait_alu 0xfffd
	v_cndmask_b32_e64 v11, 0, 1, vcc_lo
	v_cmp_ne_u32_e32 vcc_lo, v5, v14
	v_lshl_or_b32 v14, v12, 12, v9
	s_delay_alu instid0(VALU_DEP_3) | instskip(SKIP_3) | instid1(VALU_DEP_2)
	v_or_b32_e32 v11, v15, v11
	s_wait_alu 0xfffd
	v_cndmask_b32_e64 v5, 0, 1, vcc_lo
	v_cmp_gt_i32_e32 vcc_lo, 1, v7
	v_or_b32_e32 v5, v16, v5
	s_wait_alu 0xfffd
	v_cndmask_b32_e32 v11, v13, v11, vcc_lo
	v_cmp_gt_i32_e32 vcc_lo, 1, v12
	s_delay_alu instid0(VALU_DEP_2)
	v_and_b32_e32 v13, 7, v11
	s_wait_alu 0xfffd
	v_cndmask_b32_e32 v5, v14, v5, vcc_lo
	v_cmp_ne_u32_e32 vcc_lo, 0, v2
	v_lshrrev_b32_e32 v11, 2, v11
	v_cmp_eq_u32_e64 s0, 3, v13
	s_delay_alu instid0(VALU_DEP_4)
	v_and_b32_e32 v14, 7, v5
	s_wait_alu 0xfffd
	v_cndmask_b32_e64 v2, 0, 1, vcc_lo
	v_cmp_ne_u32_e32 vcc_lo, 0, v9
	v_lshrrev_b32_e32 v5, 2, v5
	v_cmp_lt_i32_e64 s1, 5, v14
	v_cmp_eq_u32_e64 s2, 3, v14
	s_wait_alu 0xfffd
	v_cndmask_b32_e64 v9, 0, 1, vcc_lo
	v_cmp_lt_i32_e32 vcc_lo, 5, v13
	v_lshl_or_b32 v2, v2, 9, 0x7c00
	s_delay_alu instid0(VALU_DEP_3)
	v_lshl_or_b32 v9, v9, 9, 0x7c00
	s_or_b32 vcc_lo, s0, vcc_lo
	s_wait_alu 0xfffe
	v_add_co_ci_u32_e32 v11, vcc_lo, 0, v11, vcc_lo
	s_or_b32 vcc_lo, s2, s1
	s_wait_alu 0xfffe
	v_add_co_ci_u32_e32 v5, vcc_lo, 0, v5, vcc_lo
	v_cmp_gt_i32_e32 vcc_lo, 31, v7
	s_wait_alu 0xfffd
	v_cndmask_b32_e32 v11, 0x7c00, v11, vcc_lo
	v_cmp_gt_i32_e32 vcc_lo, 31, v12
	s_wait_alu 0xfffd
	v_cndmask_b32_e32 v5, 0x7c00, v5, vcc_lo
	v_cmp_eq_u32_e32 vcc_lo, 0x40f, v7
	v_lshrrev_b32_e32 v7, 16, v10
	s_wait_alu 0xfffd
	v_cndmask_b32_e32 v2, v11, v2, vcc_lo
	v_cmp_eq_u32_e32 vcc_lo, 0x40f, v12
	s_delay_alu instid0(VALU_DEP_2) | instskip(SKIP_2) | instid1(VALU_DEP_1)
	v_and_or_b32 v2, 0x8000, v8, v2
	s_wait_alu 0xfffd
	v_cndmask_b32_e32 v5, v5, v9, vcc_lo
	v_and_or_b32 v5, 0x8000, v7, v5
	s_delay_alu instid0(VALU_DEP_3) | instskip(SKIP_3) | instid1(VALU_DEP_3)
	v_and_b32_e32 v7, 0xffff, v2
	v_add_co_u32 v2, vcc_lo, v3, s6
	s_wait_alu 0xfffd
	v_add_co_ci_u32_e32 v3, vcc_lo, s7, v4, vcc_lo
	v_lshl_or_b32 v4, v5, 16, v7
	global_store_b32 v[2:3], v4, off
	global_load_b32 v2, v40, s[12:13] offset:1920
	v_lshrrev_b32_e32 v3, 16, v6
	s_wait_loadcnt 0x0
	v_lshrrev_b32_e32 v4, 16, v2
	s_delay_alu instid0(VALU_DEP_1) | instskip(SKIP_1) | instid1(VALU_DEP_2)
	v_mul_f16_e32 v5, v3, v4
	v_mul_f16_e32 v4, v6, v4
	v_fmac_f16_e32 v5, v6, v2
	s_delay_alu instid0(VALU_DEP_2) | instskip(NEXT) | instid1(VALU_DEP_2)
	v_fma_f16 v2, v2, v3, -v4
	v_cvt_f32_f16_e32 v3, v5
	s_delay_alu instid0(VALU_DEP_2) | instskip(NEXT) | instid1(VALU_DEP_2)
	v_cvt_f32_f16_e32 v4, v2
	v_cvt_f64_f32_e32 v[2:3], v3
	s_delay_alu instid0(VALU_DEP_2) | instskip(NEXT) | instid1(VALU_DEP_2)
	v_cvt_f64_f32_e32 v[4:5], v4
	v_mul_f64_e32 v[2:3], s[8:9], v[2:3]
	s_delay_alu instid0(VALU_DEP_2) | instskip(NEXT) | instid1(VALU_DEP_2)
	v_mul_f64_e32 v[4:5], s[8:9], v[4:5]
	v_and_or_b32 v2, 0x1ff, v3, v2
	s_delay_alu instid0(VALU_DEP_2)
	v_and_or_b32 v4, 0x1ff, v5, v4
	v_lshrrev_b32_e32 v6, 8, v3
	v_bfe_u32 v8, v3, 20, 11
	v_bfe_u32 v9, v5, 20, 11
	v_cmp_ne_u32_e32 vcc_lo, 0, v2
	v_lshrrev_b32_e32 v7, 8, v5
	v_lshrrev_b32_e32 v5, 16, v5
	v_sub_nc_u32_e32 v10, 0x3f1, v8
	v_sub_nc_u32_e32 v11, 0x3f1, v9
	s_wait_alu 0xfffd
	v_cndmask_b32_e64 v2, 0, 1, vcc_lo
	v_cmp_ne_u32_e32 vcc_lo, 0, v4
	v_add_nc_u32_e32 v9, 0xfffffc10, v9
	s_delay_alu instid0(VALU_DEP_3)
	v_and_or_b32 v12, 0xffe, v6, v2
	s_wait_alu 0xfffd
	v_cndmask_b32_e64 v4, 0, 1, vcc_lo
	v_med3_i32 v2, v10, 0, 13
	v_med3_i32 v10, v11, 0, 13
	v_or_b32_e32 v11, 0x1000, v12
	s_delay_alu instid0(VALU_DEP_4) | instskip(SKIP_1) | instid1(VALU_DEP_3)
	v_and_or_b32 v4, 0xffe, v7, v4
	v_mad_co_u64_u32 v[6:7], null, s4, v39, 0
	v_lshrrev_b32_e32 v14, v2, v11
	s_delay_alu instid0(VALU_DEP_3) | instskip(NEXT) | instid1(VALU_DEP_2)
	v_or_b32_e32 v13, 0x1000, v4
	v_lshlrev_b32_e32 v16, v2, v14
	s_delay_alu instid0(VALU_DEP_2) | instskip(SKIP_1) | instid1(VALU_DEP_3)
	v_lshrrev_b32_e32 v15, v10, v13
	v_mov_b32_e32 v2, v7
	v_cmp_ne_u32_e32 vcc_lo, v16, v11
	s_delay_alu instid0(VALU_DEP_3) | instskip(SKIP_3) | instid1(VALU_DEP_3)
	v_lshlrev_b32_e32 v7, v10, v15
	v_add_nc_u32_e32 v10, 0xfffffc10, v8
	s_wait_alu 0xfffd
	v_cndmask_b32_e64 v11, 0, 1, vcc_lo
	v_cmp_ne_u32_e32 vcc_lo, v7, v13
	v_mad_co_u64_u32 v[7:8], null, s5, v39, v[2:3]
	v_lshl_or_b32 v2, v10, 12, v12
	s_delay_alu instid0(VALU_DEP_4)
	v_or_b32_e32 v8, v14, v11
	s_wait_alu 0xfffd
	v_cndmask_b32_e64 v13, 0, 1, vcc_lo
	v_cmp_gt_i32_e32 vcc_lo, 1, v10
	v_lshl_or_b32 v11, v9, 12, v4
	v_lshrrev_b32_e32 v3, 16, v3
	s_delay_alu instid0(VALU_DEP_4)
	v_or_b32_e32 v13, v15, v13
	s_wait_alu 0xfffd
	v_cndmask_b32_e32 v2, v2, v8, vcc_lo
	v_cmp_gt_i32_e32 vcc_lo, 1, v9
	s_wait_alu 0xfffd
	v_cndmask_b32_e32 v8, v11, v13, vcc_lo
	v_cmp_ne_u32_e32 vcc_lo, 0, v12
	v_and_b32_e32 v12, 7, v2
	v_lshrrev_b32_e32 v2, 2, v2
	s_delay_alu instid0(VALU_DEP_4)
	v_and_b32_e32 v13, 7, v8
	s_wait_alu 0xfffd
	v_cndmask_b32_e64 v11, 0, 1, vcc_lo
	v_cmp_ne_u32_e32 vcc_lo, 0, v4
	v_cmp_eq_u32_e64 s0, 3, v12
	v_lshrrev_b32_e32 v8, 2, v8
	v_cmp_lt_i32_e64 s1, 5, v13
	v_cmp_eq_u32_e64 s2, 3, v13
	s_wait_alu 0xfffd
	v_cndmask_b32_e64 v4, 0, 1, vcc_lo
	v_cmp_lt_i32_e32 vcc_lo, 5, v12
	v_lshl_or_b32 v11, v11, 9, 0x7c00
	s_delay_alu instid0(VALU_DEP_3)
	v_lshl_or_b32 v4, v4, 9, 0x7c00
	s_or_b32 vcc_lo, s0, vcc_lo
	s_wait_alu 0xfffe
	v_add_co_ci_u32_e32 v2, vcc_lo, 0, v2, vcc_lo
	s_or_b32 vcc_lo, s2, s1
	s_wait_alu 0xfffe
	v_add_co_ci_u32_e32 v8, vcc_lo, 0, v8, vcc_lo
	v_cmp_gt_i32_e32 vcc_lo, 31, v10
	s_wait_alu 0xfffd
	v_cndmask_b32_e32 v2, 0x7c00, v2, vcc_lo
	v_cmp_gt_i32_e32 vcc_lo, 31, v9
	s_wait_alu 0xfffd
	v_cndmask_b32_e32 v8, 0x7c00, v8, vcc_lo
	v_cmp_eq_u32_e32 vcc_lo, 0x40f, v10
	s_wait_alu 0xfffd
	v_cndmask_b32_e32 v2, v2, v11, vcc_lo
	v_cmp_eq_u32_e32 vcc_lo, 0x40f, v9
	s_delay_alu instid0(VALU_DEP_2) | instskip(SKIP_2) | instid1(VALU_DEP_1)
	v_and_or_b32 v2, 0x8000, v3, v2
	s_wait_alu 0xfffd
	v_cndmask_b32_e32 v4, v8, v4, vcc_lo
	v_and_or_b32 v4, 0x8000, v5, v4
	s_delay_alu instid0(VALU_DEP_3) | instskip(SKIP_1) | instid1(VALU_DEP_2)
	v_and_b32_e32 v5, 0xffff, v2
	v_lshlrev_b64_e32 v[2:3], 2, v[6:7]
	v_lshl_or_b32 v4, v4, 16, v5
	s_delay_alu instid0(VALU_DEP_2) | instskip(SKIP_1) | instid1(VALU_DEP_3)
	v_add_co_u32 v0, vcc_lo, v0, v2
	s_wait_alu 0xfffd
	v_add_co_ci_u32_e32 v1, vcc_lo, v1, v3, vcc_lo
	global_store_b32 v[0:1], v4, off
.LBB0_23:
	s_nop 0
	s_sendmsg sendmsg(MSG_DEALLOC_VGPRS)
	s_endpgm
	.section	.rodata,"a",@progbits
	.p2align	6, 0x0
	.amdhsa_kernel bluestein_single_fwd_len510_dim1_half_op_CI_CI
		.amdhsa_group_segment_fixed_size 14280
		.amdhsa_private_segment_fixed_size 0
		.amdhsa_kernarg_size 104
		.amdhsa_user_sgpr_count 2
		.amdhsa_user_sgpr_dispatch_ptr 0
		.amdhsa_user_sgpr_queue_ptr 0
		.amdhsa_user_sgpr_kernarg_segment_ptr 1
		.amdhsa_user_sgpr_dispatch_id 0
		.amdhsa_user_sgpr_private_segment_size 0
		.amdhsa_wavefront_size32 1
		.amdhsa_uses_dynamic_stack 0
		.amdhsa_enable_private_segment 0
		.amdhsa_system_sgpr_workgroup_id_x 1
		.amdhsa_system_sgpr_workgroup_id_y 0
		.amdhsa_system_sgpr_workgroup_id_z 0
		.amdhsa_system_sgpr_workgroup_info 0
		.amdhsa_system_vgpr_workitem_id 0
		.amdhsa_next_free_vgpr 204
		.amdhsa_next_free_sgpr 16
		.amdhsa_reserve_vcc 1
		.amdhsa_float_round_mode_32 0
		.amdhsa_float_round_mode_16_64 0
		.amdhsa_float_denorm_mode_32 3
		.amdhsa_float_denorm_mode_16_64 3
		.amdhsa_fp16_overflow 0
		.amdhsa_workgroup_processor_mode 1
		.amdhsa_memory_ordered 1
		.amdhsa_forward_progress 0
		.amdhsa_round_robin_scheduling 0
		.amdhsa_exception_fp_ieee_invalid_op 0
		.amdhsa_exception_fp_denorm_src 0
		.amdhsa_exception_fp_ieee_div_zero 0
		.amdhsa_exception_fp_ieee_overflow 0
		.amdhsa_exception_fp_ieee_underflow 0
		.amdhsa_exception_fp_ieee_inexact 0
		.amdhsa_exception_int_div_zero 0
	.end_amdhsa_kernel
	.text
.Lfunc_end0:
	.size	bluestein_single_fwd_len510_dim1_half_op_CI_CI, .Lfunc_end0-bluestein_single_fwd_len510_dim1_half_op_CI_CI
                                        ; -- End function
	.section	.AMDGPU.csdata,"",@progbits
; Kernel info:
; codeLenInByte = 36980
; NumSgprs: 18
; NumVgprs: 204
; ScratchSize: 0
; MemoryBound: 0
; FloatMode: 240
; IeeeMode: 1
; LDSByteSize: 14280 bytes/workgroup (compile time only)
; SGPRBlocks: 2
; VGPRBlocks: 25
; NumSGPRsForWavesPerEU: 18
; NumVGPRsForWavesPerEU: 204
; Occupancy: 7
; WaveLimiterHint : 1
; COMPUTE_PGM_RSRC2:SCRATCH_EN: 0
; COMPUTE_PGM_RSRC2:USER_SGPR: 2
; COMPUTE_PGM_RSRC2:TRAP_HANDLER: 0
; COMPUTE_PGM_RSRC2:TGID_X_EN: 1
; COMPUTE_PGM_RSRC2:TGID_Y_EN: 0
; COMPUTE_PGM_RSRC2:TGID_Z_EN: 0
; COMPUTE_PGM_RSRC2:TIDIG_COMP_CNT: 0
	.text
	.p2alignl 7, 3214868480
	.fill 96, 4, 3214868480
	.type	__hip_cuid_6d49543c4dcfddcd,@object ; @__hip_cuid_6d49543c4dcfddcd
	.section	.bss,"aw",@nobits
	.globl	__hip_cuid_6d49543c4dcfddcd
__hip_cuid_6d49543c4dcfddcd:
	.byte	0                               ; 0x0
	.size	__hip_cuid_6d49543c4dcfddcd, 1

	.ident	"AMD clang version 19.0.0git (https://github.com/RadeonOpenCompute/llvm-project roc-6.4.0 25133 c7fe45cf4b819c5991fe208aaa96edf142730f1d)"
	.section	".note.GNU-stack","",@progbits
	.addrsig
	.addrsig_sym __hip_cuid_6d49543c4dcfddcd
	.amdgpu_metadata
---
amdhsa.kernels:
  - .args:
      - .actual_access:  read_only
        .address_space:  global
        .offset:         0
        .size:           8
        .value_kind:     global_buffer
      - .actual_access:  read_only
        .address_space:  global
        .offset:         8
        .size:           8
        .value_kind:     global_buffer
      - .actual_access:  read_only
        .address_space:  global
        .offset:         16
        .size:           8
        .value_kind:     global_buffer
      - .actual_access:  read_only
        .address_space:  global
        .offset:         24
        .size:           8
        .value_kind:     global_buffer
      - .actual_access:  read_only
        .address_space:  global
        .offset:         32
        .size:           8
        .value_kind:     global_buffer
      - .offset:         40
        .size:           8
        .value_kind:     by_value
      - .address_space:  global
        .offset:         48
        .size:           8
        .value_kind:     global_buffer
      - .address_space:  global
        .offset:         56
        .size:           8
        .value_kind:     global_buffer
      - .address_space:  global
        .offset:         64
        .size:           8
        .value_kind:     global_buffer
      - .address_space:  global
        .offset:         72
        .size:           8
        .value_kind:     global_buffer
      - .offset:         80
        .size:           4
        .value_kind:     by_value
      - .address_space:  global
        .offset:         88
        .size:           8
        .value_kind:     global_buffer
      - .address_space:  global
        .offset:         96
        .size:           8
        .value_kind:     global_buffer
    .group_segment_fixed_size: 14280
    .kernarg_segment_align: 8
    .kernarg_segment_size: 104
    .language:       OpenCL C
    .language_version:
      - 2
      - 0
    .max_flat_workgroup_size: 238
    .name:           bluestein_single_fwd_len510_dim1_half_op_CI_CI
    .private_segment_fixed_size: 0
    .sgpr_count:     18
    .sgpr_spill_count: 0
    .symbol:         bluestein_single_fwd_len510_dim1_half_op_CI_CI.kd
    .uniform_work_group_size: 1
    .uses_dynamic_stack: false
    .vgpr_count:     204
    .vgpr_spill_count: 0
    .wavefront_size: 32
    .workgroup_processor_mode: 1
amdhsa.target:   amdgcn-amd-amdhsa--gfx1201
amdhsa.version:
  - 1
  - 2
...

	.end_amdgpu_metadata
